;; amdgpu-corpus repo=ROCm/rocFFT kind=compiled arch=gfx906 opt=O3
	.text
	.amdgcn_target "amdgcn-amd-amdhsa--gfx906"
	.amdhsa_code_object_version 6
	.protected	fft_rtc_back_len1360_factors_17_5_16_wgs_255_tpt_85_halfLds_half_op_CI_CI_sbrr_dirReg ; -- Begin function fft_rtc_back_len1360_factors_17_5_16_wgs_255_tpt_85_halfLds_half_op_CI_CI_sbrr_dirReg
	.globl	fft_rtc_back_len1360_factors_17_5_16_wgs_255_tpt_85_halfLds_half_op_CI_CI_sbrr_dirReg
	.p2align	8
	.type	fft_rtc_back_len1360_factors_17_5_16_wgs_255_tpt_85_halfLds_half_op_CI_CI_sbrr_dirReg,@function
fft_rtc_back_len1360_factors_17_5_16_wgs_255_tpt_85_halfLds_half_op_CI_CI_sbrr_dirReg: ; @fft_rtc_back_len1360_factors_17_5_16_wgs_255_tpt_85_halfLds_half_op_CI_CI_sbrr_dirReg
; %bb.0:
	s_load_dwordx4 s[16:19], s[4:5], 0x18
	s_load_dwordx4 s[12:15], s[4:5], 0x0
	;; [unrolled: 1-line block ×3, first 2 shown]
	v_mul_u32_u24_e32 v1, 0x304, v0
	v_lshrrev_b32_e32 v1, 16, v1
	s_waitcnt lgkmcnt(0)
	s_load_dwordx2 s[2:3], s[16:17], 0x0
	s_load_dwordx2 s[20:21], s[18:19], 0x0
	v_mad_u64_u32 v[1:2], s[0:1], s6, 3, v[1:2]
	v_mov_b32_e32 v10, 0
	v_mov_b32_e32 v2, v10
	v_cmp_lt_u64_e64 s[0:1], s[14:15], 2
	v_mov_b32_e32 v8, 0
	v_mov_b32_e32 v9, 0
	;; [unrolled: 1-line block ×4, first 2 shown]
	s_and_b64 vcc, exec, s[0:1]
	v_mov_b32_e32 v5, v9
	v_mov_b32_e32 v6, v1
	s_cbranch_vccnz .LBB0_8
; %bb.1:
	s_load_dwordx2 s[0:1], s[4:5], 0x10
	s_add_u32 s6, s18, 8
	s_addc_u32 s7, s19, 0
	s_add_u32 s22, s16, 8
	s_addc_u32 s23, s17, 0
	v_mov_b32_e32 v8, 0
	s_waitcnt lgkmcnt(0)
	s_add_u32 s24, s0, 8
	v_mov_b32_e32 v9, 0
	v_mov_b32_e32 v4, v8
	;; [unrolled: 1-line block ×3, first 2 shown]
	s_addc_u32 s25, s1, 0
	s_mov_b64 s[26:27], 1
	v_mov_b32_e32 v5, v9
	v_mov_b32_e32 v2, v1
.LBB0_2:                                ; =>This Inner Loop Header: Depth=1
	s_load_dwordx2 s[28:29], s[24:25], 0x0
                                        ; implicit-def: $vgpr6_vgpr7
	s_waitcnt lgkmcnt(0)
	v_or_b32_e32 v11, s29, v3
	v_cmp_ne_u64_e32 vcc, 0, v[10:11]
	s_and_saveexec_b64 s[0:1], vcc
	s_xor_b64 s[30:31], exec, s[0:1]
	s_cbranch_execz .LBB0_4
; %bb.3:                                ;   in Loop: Header=BB0_2 Depth=1
	v_cvt_f32_u32_e32 v6, s28
	v_cvt_f32_u32_e32 v7, s29
	s_sub_u32 s0, 0, s28
	s_subb_u32 s1, 0, s29
	v_mac_f32_e32 v6, 0x4f800000, v7
	v_rcp_f32_e32 v6, v6
	v_mul_f32_e32 v6, 0x5f7ffffc, v6
	v_mul_f32_e32 v7, 0x2f800000, v6
	v_trunc_f32_e32 v7, v7
	v_mac_f32_e32 v6, 0xcf800000, v7
	v_cvt_u32_f32_e32 v7, v7
	v_cvt_u32_f32_e32 v6, v6
	v_mul_lo_u32 v11, s0, v7
	v_mul_hi_u32 v12, s0, v6
	v_mul_lo_u32 v14, s1, v6
	v_mul_lo_u32 v13, s0, v6
	v_add_u32_e32 v11, v12, v11
	v_add_u32_e32 v11, v11, v14
	v_mul_hi_u32 v12, v6, v13
	v_mul_lo_u32 v14, v6, v11
	v_mul_hi_u32 v16, v6, v11
	v_mul_hi_u32 v15, v7, v13
	v_mul_lo_u32 v13, v7, v13
	v_mul_hi_u32 v17, v7, v11
	v_add_co_u32_e32 v12, vcc, v12, v14
	v_addc_co_u32_e32 v14, vcc, 0, v16, vcc
	v_mul_lo_u32 v11, v7, v11
	v_add_co_u32_e32 v12, vcc, v12, v13
	v_addc_co_u32_e32 v12, vcc, v14, v15, vcc
	v_addc_co_u32_e32 v13, vcc, 0, v17, vcc
	v_add_co_u32_e32 v11, vcc, v12, v11
	v_addc_co_u32_e32 v12, vcc, 0, v13, vcc
	v_add_co_u32_e32 v6, vcc, v6, v11
	v_addc_co_u32_e32 v7, vcc, v7, v12, vcc
	v_mul_lo_u32 v11, s0, v7
	v_mul_hi_u32 v12, s0, v6
	v_mul_lo_u32 v13, s1, v6
	v_mul_lo_u32 v14, s0, v6
	v_add_u32_e32 v11, v12, v11
	v_add_u32_e32 v11, v11, v13
	v_mul_lo_u32 v15, v6, v11
	v_mul_hi_u32 v16, v6, v14
	v_mul_hi_u32 v17, v6, v11
	;; [unrolled: 1-line block ×3, first 2 shown]
	v_mul_lo_u32 v14, v7, v14
	v_mul_hi_u32 v12, v7, v11
	v_add_co_u32_e32 v15, vcc, v16, v15
	v_addc_co_u32_e32 v16, vcc, 0, v17, vcc
	v_mul_lo_u32 v11, v7, v11
	v_add_co_u32_e32 v14, vcc, v15, v14
	v_addc_co_u32_e32 v13, vcc, v16, v13, vcc
	v_addc_co_u32_e32 v12, vcc, 0, v12, vcc
	v_add_co_u32_e32 v11, vcc, v13, v11
	v_addc_co_u32_e32 v12, vcc, 0, v12, vcc
	v_add_co_u32_e32 v11, vcc, v6, v11
	v_addc_co_u32_e32 v12, vcc, v7, v12, vcc
	v_mad_u64_u32 v[6:7], s[0:1], v2, v12, 0
	v_mul_hi_u32 v13, v2, v11
	v_add_co_u32_e32 v13, vcc, v13, v6
	v_addc_co_u32_e32 v14, vcc, 0, v7, vcc
	v_mad_u64_u32 v[6:7], s[0:1], v3, v11, 0
	v_mad_u64_u32 v[11:12], s[0:1], v3, v12, 0
	v_add_co_u32_e32 v6, vcc, v13, v6
	v_addc_co_u32_e32 v6, vcc, v14, v7, vcc
	v_addc_co_u32_e32 v7, vcc, 0, v12, vcc
	v_add_co_u32_e32 v11, vcc, v6, v11
	v_addc_co_u32_e32 v12, vcc, 0, v7, vcc
	v_mul_lo_u32 v13, s29, v11
	v_mul_lo_u32 v14, s28, v12
	v_mad_u64_u32 v[6:7], s[0:1], s28, v11, 0
	v_add3_u32 v7, v7, v14, v13
	v_sub_u32_e32 v13, v3, v7
	v_mov_b32_e32 v14, s29
	v_sub_co_u32_e32 v6, vcc, v2, v6
	v_subb_co_u32_e64 v13, s[0:1], v13, v14, vcc
	v_subrev_co_u32_e64 v14, s[0:1], s28, v6
	v_subbrev_co_u32_e64 v13, s[0:1], 0, v13, s[0:1]
	v_cmp_le_u32_e64 s[0:1], s29, v13
	v_cndmask_b32_e64 v15, 0, -1, s[0:1]
	v_cmp_le_u32_e64 s[0:1], s28, v14
	v_cndmask_b32_e64 v14, 0, -1, s[0:1]
	v_cmp_eq_u32_e64 s[0:1], s29, v13
	v_cndmask_b32_e64 v13, v15, v14, s[0:1]
	v_add_co_u32_e64 v14, s[0:1], 2, v11
	v_addc_co_u32_e64 v15, s[0:1], 0, v12, s[0:1]
	v_add_co_u32_e64 v16, s[0:1], 1, v11
	v_addc_co_u32_e64 v17, s[0:1], 0, v12, s[0:1]
	v_subb_co_u32_e32 v7, vcc, v3, v7, vcc
	v_cmp_ne_u32_e64 s[0:1], 0, v13
	v_cmp_le_u32_e32 vcc, s29, v7
	v_cndmask_b32_e64 v13, v17, v15, s[0:1]
	v_cndmask_b32_e64 v15, 0, -1, vcc
	v_cmp_le_u32_e32 vcc, s28, v6
	v_cndmask_b32_e64 v6, 0, -1, vcc
	v_cmp_eq_u32_e32 vcc, s29, v7
	v_cndmask_b32_e32 v6, v15, v6, vcc
	v_cmp_ne_u32_e32 vcc, 0, v6
	v_cndmask_b32_e64 v6, v16, v14, s[0:1]
	v_cndmask_b32_e32 v7, v12, v13, vcc
	v_cndmask_b32_e32 v6, v11, v6, vcc
.LBB0_4:                                ;   in Loop: Header=BB0_2 Depth=1
	s_andn2_saveexec_b64 s[0:1], s[30:31]
	s_cbranch_execz .LBB0_6
; %bb.5:                                ;   in Loop: Header=BB0_2 Depth=1
	v_cvt_f32_u32_e32 v6, s28
	s_sub_i32 s30, 0, s28
	v_rcp_iflag_f32_e32 v6, v6
	v_mul_f32_e32 v6, 0x4f7ffffe, v6
	v_cvt_u32_f32_e32 v6, v6
	v_mul_lo_u32 v7, s30, v6
	v_mul_hi_u32 v7, v6, v7
	v_add_u32_e32 v6, v6, v7
	v_mul_hi_u32 v6, v2, v6
	v_mul_lo_u32 v7, v6, s28
	v_add_u32_e32 v11, 1, v6
	v_sub_u32_e32 v7, v2, v7
	v_subrev_u32_e32 v12, s28, v7
	v_cmp_le_u32_e32 vcc, s28, v7
	v_cndmask_b32_e32 v7, v7, v12, vcc
	v_cndmask_b32_e32 v6, v6, v11, vcc
	v_add_u32_e32 v11, 1, v6
	v_cmp_le_u32_e32 vcc, s28, v7
	v_cndmask_b32_e32 v6, v6, v11, vcc
	v_mov_b32_e32 v7, v10
.LBB0_6:                                ;   in Loop: Header=BB0_2 Depth=1
	s_or_b64 exec, exec, s[0:1]
	v_mul_lo_u32 v13, v7, s28
	v_mul_lo_u32 v14, v6, s29
	v_mad_u64_u32 v[11:12], s[0:1], v6, s28, 0
	s_load_dwordx2 s[0:1], s[22:23], 0x0
	s_load_dwordx2 s[28:29], s[6:7], 0x0
	v_add3_u32 v12, v12, v14, v13
	v_sub_co_u32_e32 v2, vcc, v2, v11
	v_subb_co_u32_e32 v3, vcc, v3, v12, vcc
	s_waitcnt lgkmcnt(0)
	v_mul_lo_u32 v11, s0, v3
	v_mul_lo_u32 v12, s1, v2
	v_mad_u64_u32 v[8:9], s[0:1], s0, v2, v[8:9]
	v_mul_lo_u32 v3, s28, v3
	v_mul_lo_u32 v13, s29, v2
	v_mad_u64_u32 v[4:5], s[0:1], s28, v2, v[4:5]
	s_add_u32 s26, s26, 1
	s_addc_u32 s27, s27, 0
	s_add_u32 s6, s6, 8
	v_add3_u32 v5, v13, v5, v3
	s_addc_u32 s7, s7, 0
	v_mov_b32_e32 v2, s14
	s_add_u32 s22, s22, 8
	v_mov_b32_e32 v3, s15
	s_addc_u32 s23, s23, 0
	v_cmp_ge_u64_e32 vcc, s[26:27], v[2:3]
	s_add_u32 s24, s24, 8
	v_add3_u32 v9, v12, v9, v11
	s_addc_u32 s25, s25, 0
	s_cbranch_vccnz .LBB0_8
; %bb.7:                                ;   in Loop: Header=BB0_2 Depth=1
	v_mov_b32_e32 v2, v6
	v_mov_b32_e32 v3, v7
	s_branch .LBB0_2
.LBB0_8:
	s_lshl_b64 s[22:23], s[14:15], 3
	s_load_dwordx2 s[0:1], s[4:5], 0x28
	s_add_u32 s4, s18, s22
	s_mov_b32 s5, 0x3030304
	v_mul_hi_u32 v2, v0, s5
	s_addc_u32 s5, s19, s23
	s_load_dwordx2 s[4:5], s[4:5], 0x0
	s_waitcnt lgkmcnt(0)
	v_cmp_gt_u64_e32 vcc, s[0:1], v[6:7]
	v_mul_u32_u24_e32 v2, 0x55, v2
	v_sub_u32_e32 v11, v0, v2
	v_mov_b32_e32 v16, 0
	v_mov_b32_e32 v10, 0
	;; [unrolled: 1-line block ×3, first 2 shown]
                                        ; implicit-def: $vgpr18
                                        ; implicit-def: $vgpr15
                                        ; implicit-def: $vgpr19
                                        ; implicit-def: $vgpr14
                                        ; implicit-def: $vgpr20
                                        ; implicit-def: $vgpr13
                                        ; implicit-def: $vgpr21
                                        ; implicit-def: $vgpr12
                                        ; implicit-def: $vgpr22
                                        ; implicit-def: $vgpr3
                                        ; implicit-def: $vgpr23
                                        ; implicit-def: $vgpr2
                                        ; implicit-def: $vgpr24
                                        ; implicit-def: $vgpr0
                                        ; implicit-def: $vgpr25
                                        ; implicit-def: $vgpr35
                                        ; implicit-def: $vgpr26
                                        ; implicit-def: $vgpr27
                                        ; implicit-def: $vgpr36
                                        ; implicit-def: $vgpr28
                                        ; implicit-def: $vgpr37
                                        ; implicit-def: $vgpr29
                                        ; implicit-def: $vgpr39
                                        ; implicit-def: $vgpr30
                                        ; implicit-def: $vgpr40
                                        ; implicit-def: $vgpr31
                                        ; implicit-def: $vgpr41
                                        ; implicit-def: $vgpr32
                                        ; implicit-def: $vgpr42
                                        ; implicit-def: $vgpr33
                                        ; implicit-def: $vgpr43
	s_and_saveexec_b64 s[6:7], vcc
	s_cbranch_execz .LBB0_12
; %bb.9:
	s_movk_i32 s0, 0x50
	v_cmp_gt_u32_e64 s[0:1], s0, v11
	v_mov_b32_e32 v38, 0
	v_mov_b32_e32 v16, 0
                                        ; implicit-def: $vgpr43
                                        ; implicit-def: $vgpr33
                                        ; implicit-def: $vgpr42
                                        ; implicit-def: $vgpr32
                                        ; implicit-def: $vgpr41
                                        ; implicit-def: $vgpr31
                                        ; implicit-def: $vgpr40
                                        ; implicit-def: $vgpr30
                                        ; implicit-def: $vgpr39
                                        ; implicit-def: $vgpr29
                                        ; implicit-def: $vgpr37
                                        ; implicit-def: $vgpr28
                                        ; implicit-def: $vgpr36
                                        ; implicit-def: $vgpr27
                                        ; implicit-def: $vgpr26
                                        ; implicit-def: $vgpr35
                                        ; implicit-def: $vgpr25
                                        ; implicit-def: $vgpr0
                                        ; implicit-def: $vgpr24
                                        ; implicit-def: $vgpr2
                                        ; implicit-def: $vgpr23
                                        ; implicit-def: $vgpr3
                                        ; implicit-def: $vgpr22
                                        ; implicit-def: $vgpr12
                                        ; implicit-def: $vgpr21
                                        ; implicit-def: $vgpr13
                                        ; implicit-def: $vgpr20
                                        ; implicit-def: $vgpr14
                                        ; implicit-def: $vgpr19
                                        ; implicit-def: $vgpr15
                                        ; implicit-def: $vgpr18
	s_and_saveexec_b64 s[14:15], s[0:1]
	s_cbranch_execz .LBB0_11
; %bb.10:
	s_add_u32 s0, s16, s22
	s_addc_u32 s1, s17, s23
	s_load_dwordx2 s[0:1], s[0:1], 0x0
	v_mad_u64_u32 v[2:3], s[16:17], s2, v11, 0
	v_lshlrev_b64 v[8:9], 2, v[8:9]
	v_add_u32_e32 v35, 0x2d0, v11
	s_waitcnt lgkmcnt(0)
	v_mul_lo_u32 v10, s1, v6
	v_mul_lo_u32 v16, s0, v7
	v_mad_u64_u32 v[12:13], s[0:1], s0, v6, 0
	v_mov_b32_e32 v0, v3
	v_mad_u64_u32 v[14:15], s[0:1], s3, v11, v[0:1]
	v_add3_u32 v13, v13, v16, v10
	v_lshlrev_b64 v[12:13], 2, v[12:13]
	v_mov_b32_e32 v3, v14
	v_mov_b32_e32 v0, s9
	v_add_co_u32_e64 v10, s[0:1], s8, v12
	v_add_u32_e32 v14, 0x50, v11
	v_addc_co_u32_e64 v0, s[0:1], v0, v13, s[0:1]
	v_mad_u64_u32 v[12:13], s[0:1], s2, v14, 0
	v_add_co_u32_e64 v38, s[0:1], v10, v8
	v_addc_co_u32_e64 v43, s[0:1], v0, v9, s[0:1]
	v_mov_b32_e32 v0, v13
	v_mad_u64_u32 v[8:9], s[0:1], s3, v14, v[0:1]
	v_add_u32_e32 v14, 0xa0, v11
	v_mad_u64_u32 v[9:10], s[0:1], s2, v14, 0
	v_lshlrev_b64 v[2:3], 2, v[2:3]
	v_mov_b32_e32 v13, v8
	v_add_co_u32_e64 v16, s[0:1], v38, v2
	v_mov_b32_e32 v0, v10
	v_addc_co_u32_e64 v17, s[0:1], v43, v3, s[0:1]
	v_lshlrev_b64 v[2:3], 2, v[12:13]
	v_mad_u64_u32 v[12:13], s[0:1], s3, v14, v[0:1]
	v_add_u32_e32 v8, 0xf0, v11
	v_mad_u64_u32 v[13:14], s[0:1], s2, v8, 0
	v_add_co_u32_e64 v18, s[0:1], v38, v2
	v_mov_b32_e32 v10, v12
	v_mov_b32_e32 v0, v14
	v_addc_co_u32_e64 v19, s[0:1], v43, v3, s[0:1]
	v_lshlrev_b64 v[2:3], 2, v[9:10]
	v_mad_u64_u32 v[8:9], s[0:1], s3, v8, v[0:1]
	v_add_u32_e32 v12, 0x140, v11
	v_mad_u64_u32 v[9:10], s[0:1], s2, v12, 0
	v_add_co_u32_e64 v20, s[0:1], v38, v2
	v_mov_b32_e32 v14, v8
	;; [unrolled: 8-line block ×5, first 2 shown]
	v_mov_b32_e32 v0, v14
	v_addc_co_u32_e64 v27, s[0:1], v43, v3, s[0:1]
	v_lshlrev_b64 v[2:3], 2, v[9:10]
	v_mad_u64_u32 v[8:9], s[0:1], s3, v8, v[0:1]
	v_add_co_u32_e64 v9, s[0:1], v38, v2
	v_mov_b32_e32 v14, v8
	v_or_b32_e32 v8, 0x280, v11
	v_addc_co_u32_e64 v10, s[0:1], v43, v3, s[0:1]
	v_mad_u64_u32 v[28:29], s[0:1], s2, v8, 0
	v_lshlrev_b64 v[2:3], 2, v[13:14]
	v_add_co_u32_e64 v30, s[0:1], v38, v2
	v_mov_b32_e32 v0, v29
	v_addc_co_u32_e64 v31, s[0:1], v43, v3, s[0:1]
	v_mad_u64_u32 v[32:33], s[0:1], s3, v8, v[0:1]
	v_mad_u64_u32 v[33:34], s[0:1], s2, v35, 0
	global_load_dword v44, v[16:17], off
	global_load_dword v15, v[18:19], off
	;; [unrolled: 1-line block ×8, first 2 shown]
	v_add_u32_e32 v21, 0x320, v11
	v_mov_b32_e32 v10, v34
	v_mad_u64_u32 v[16:17], s[0:1], s3, v35, v[10:11]
	v_mad_u64_u32 v[17:18], s[0:1], s2, v21, 0
	v_mov_b32_e32 v29, v32
	v_lshlrev_b64 v[8:9], 2, v[28:29]
	v_mov_b32_e32 v10, v18
	v_add_co_u32_e64 v8, s[0:1], v38, v8
	v_addc_co_u32_e64 v9, s[0:1], v43, v9, s[0:1]
	v_mad_u64_u32 v[21:22], s[0:1], s3, v21, v[10:11]
	v_add_u32_e32 v24, 0x370, v11
	v_mad_u64_u32 v[22:23], s[0:1], s2, v24, 0
	v_mov_b32_e32 v34, v16
	v_lshlrev_b64 v[19:20], 2, v[33:34]
	v_mov_b32_e32 v18, v21
	v_add_co_u32_e64 v19, s[0:1], v38, v19
	v_mov_b32_e32 v10, v23
	v_addc_co_u32_e64 v20, s[0:1], v43, v20, s[0:1]
	v_lshlrev_b64 v[16:17], 2, v[17:18]
	v_mad_u64_u32 v[23:24], s[0:1], s3, v24, v[10:11]
	v_add_u32_e32 v18, 0x3c0, v11
	v_mad_u64_u32 v[24:25], s[0:1], s2, v18, 0
	v_add_co_u32_e64 v16, s[0:1], v38, v16
	v_mov_b32_e32 v10, v25
	v_addc_co_u32_e64 v17, s[0:1], v43, v17, s[0:1]
	v_mad_u64_u32 v[25:26], s[0:1], s3, v18, v[10:11]
	v_add_u32_e32 v18, 0x410, v11
	v_mad_u64_u32 v[26:27], s[0:1], s2, v18, 0
	v_lshlrev_b64 v[21:22], 2, v[22:23]
	v_lshlrev_b64 v[23:24], 2, v[24:25]
	v_add_co_u32_e64 v21, s[0:1], v38, v21
	v_mov_b32_e32 v10, v27
	v_addc_co_u32_e64 v22, s[0:1], v43, v22, s[0:1]
	v_mad_u64_u32 v[27:28], s[0:1], s3, v18, v[10:11]
	v_add_u32_e32 v18, 0x460, v11
	v_mad_u64_u32 v[28:29], s[0:1], s2, v18, 0
	v_add_co_u32_e64 v23, s[0:1], v38, v23
	v_mov_b32_e32 v10, v29
	v_addc_co_u32_e64 v24, s[0:1], v43, v24, s[0:1]
	v_mad_u64_u32 v[29:30], s[0:1], s3, v18, v[10:11]
	v_add_u32_e32 v18, 0x4b0, v11
	v_mad_u64_u32 v[30:31], s[0:1], s2, v18, 0
	v_lshlrev_b64 v[25:26], 2, v[26:27]
	v_lshlrev_b64 v[27:28], 2, v[28:29]
	v_add_co_u32_e64 v25, s[0:1], v38, v25
	v_mov_b32_e32 v10, v31
	v_addc_co_u32_e64 v26, s[0:1], v43, v26, s[0:1]
	v_mad_u64_u32 v[31:32], s[0:1], s3, v18, v[10:11]
	v_add_co_u32_e64 v27, s[0:1], v38, v27
	v_or_b32_e32 v18, 0x500, v11
	v_addc_co_u32_e64 v28, s[0:1], v43, v28, s[0:1]
	v_lshlrev_b64 v[29:30], 2, v[30:31]
	v_mad_u64_u32 v[31:32], s[0:1], s2, v18, 0
	v_add_co_u32_e64 v29, s[0:1], v38, v29
	v_mov_b32_e32 v10, v32
	v_addc_co_u32_e64 v30, s[0:1], v43, v30, s[0:1]
	v_mad_u64_u32 v[32:33], s[0:1], s3, v18, v[10:11]
	global_load_dword v35, v[8:9], off
	global_load_dword v10, v[19:20], off
	;; [unrolled: 1-line block ×8, first 2 shown]
	s_waitcnt vmcnt(15)
	v_lshrrev_b32_e32 v16, 16, v44
	v_lshlrev_b64 v[8:9], 2, v[31:32]
	s_waitcnt vmcnt(14)
	v_lshrrev_b32_e32 v18, 16, v15
	v_add_co_u32_e64 v8, s[0:1], v38, v8
	v_addc_co_u32_e64 v9, s[0:1], v43, v9, s[0:1]
	global_load_dword v43, v[8:9], off
	s_mov_b32 s0, 0x5040100
	s_waitcnt vmcnt(14)
	v_lshrrev_b32_e32 v19, 16, v14
	s_waitcnt vmcnt(13)
	v_lshrrev_b32_e32 v20, 16, v13
	;; [unrolled: 2-line block ×14, first 2 shown]
	v_perm_b32 v38, v44, v10, s0
	s_waitcnt vmcnt(0)
	v_lshrrev_b32_e32 v33, 16, v43
.LBB0_11:
	s_or_b64 exec, exec, s[14:15]
	v_mov_b32_e32 v10, v11
.LBB0_12:
	s_or_b64 exec, exec, s[6:7]
	s_mov_b32 s0, 0xaaaaaaab
	v_mul_hi_u32 v8, v1, s0
	v_sub_f16_e32 v17, v18, v33
	s_mov_b32 s0, 0xb5c8b964
	v_add_f16_e32 v64, v15, v43
	v_lshrrev_b32_e32 v8, 1, v8
	v_lshl_add_u32 v8, v8, 1, v8
	v_sub_f16_e32 v44, v19, v32
	s_mov_b32 s6, 0x3b7639e9
	v_pk_mul_f16 v71, v17, s0 op_sel_hi:[0,1]
	s_mov_b32 s0, 0xb964bbf7
	v_add_f16_e32 v65, v14, v42
	v_sub_u32_e32 v8, v1, v8
	v_sub_f16_e32 v1, v20, v31
	v_pk_fma_f16 v9, v64, s6, v71 op_sel_hi:[0,1,1] neg_lo:[0,0,1] neg_hi:[0,0,1]
	s_mov_b32 s7, 0x39e92de8
	v_pk_mul_f16 v73, v44, s0 op_sel_hi:[0,1]
	s_mov_b32 s0, 0xbb29ba62
	v_add_f16_e32 v63, v13, v41
	v_pk_add_f16 v9, v38, v9 op_sel:[1,0]
	v_pk_fma_f16 v34, v65, s7, v73 op_sel_hi:[0,1,1] neg_lo:[0,0,1] neg_hi:[0,0,1]
	s_mov_b32 s8, 0x3722b8d2
	v_pk_mul_f16 v74, v1, s0 op_sel_hi:[0,1]
	s_mov_b32 s0, 0xbbf7b1e1
	v_sub_f16_e32 v58, v21, v30
	v_pk_add_f16 v9, v34, v9
	v_pk_fma_f16 v34, v63, s8, v74 op_sel_hi:[0,1,1] neg_lo:[0,0,1] neg_hi:[0,0,1]
	s_mov_b32 s9, 0x2de8bbdd
	v_add_f16_e32 v67, v12, v40
	v_pk_mul_f16 v75, v58, s0 op_sel_hi:[0,1]
	s_mov_b32 s0, 0xbbb23836
	v_sub_f16_e32 v59, v22, v29
	v_pk_add_f16 v9, v34, v9
	v_pk_fma_f16 v34, v67, s9, v75 op_sel_hi:[0,1,1] neg_lo:[0,0,1] neg_hi:[0,0,1]
	s_mov_b32 s15, 0xb461bacd
	v_add_f16_e32 v68, v3, v39
	;; [unrolled: 7-line block ×5, first 2 shown]
	v_pk_mul_f16 v72, v66, s0 op_sel_hi:[0,1]
	v_pk_add_f16 v9, v34, v9
	v_pk_fma_f16 v34, v62, s14, v72 op_sel_hi:[0,1,1] neg_lo:[0,0,1] neg_hi:[0,0,1]
	v_mul_u32_u24_e32 v8, 0x550, v8
	s_movk_i32 s0, 0x50
	v_pk_add_f16 v9, v34, v9
	v_cmp_gt_u32_e64 s[2:3], s0, v11
	v_lshlrev_b32_e32 v8, 1, v8
	s_and_saveexec_b64 s[0:1], s[2:3]
	s_cbranch_execz .LBB0_14
; %bb.13:
	v_pk_mul_f16 v85, v70, s17 op_sel_hi:[0,1]
	v_pk_mul_f16 v79, v64, s6 op_sel_hi:[0,1]
	s_mov_b32 s6, 0x7060302
	v_pk_mul_f16 v83, v68, s15 op_sel_hi:[0,1]
	v_mul_f16_e32 v87, 0x3722, v64
	s_mov_b32 s15, 0xbb29
	v_pk_add_f16 v78, v78, v85
	v_add_f16_sdwa v85, v38, v15 dst_sel:DWORD dst_unused:UNUSED_PAD src0_sel:WORD_1 src1_sel:DWORD
	v_perm_b32 v56, v38, v38, s6
	s_mov_b32 s6, 0xba62
	v_mul_f16_e32 v88, 0xb8d2, v65
	v_fma_f16 v93, v17, s15, v87
	v_add_f16_e32 v85, v85, v14
	v_pk_mul_f16 v81, v63, s8 op_sel_hi:[0,1]
	s_movk_i32 s8, 0x31e1
	v_mul_f16_e32 v89, 0xbbdd, v63
	v_add_f16_sdwa v93, v38, v93 dst_sel:DWORD dst_unused:UNUSED_PAD src0_sel:WORD_1 src1_sel:DWORD
	v_fma_f16 v94, v44, s6, v88
	v_add_f16_e32 v85, v85, v13
	v_mul_f16_e32 v90, 0xb461, v67
	v_add_f16_e32 v93, v94, v93
	v_fma_f16 v94, v1, s8, v89
	s_movk_i32 s15, 0x3bb2
	v_add_f16_e32 v85, v85, v12
	v_pack_b32_f16 v52, v64, v64
	v_pk_mul_f16 v80, v65, s7 op_sel_hi:[0,1]
	s_movk_i32 s7, 0x3964
	v_mul_f16_e32 v91, 0x39e9, v68
	v_add_f16_e32 v93, v94, v93
	v_fma_f16 v94, v58, s15, v90
	v_pk_add_f16 v74, v74, v81
	v_pk_mul_f16 v81, v62, s14 op_sel_hi:[0,1]
	s_mov_b32 s14, 0xb4612de8
	v_add_f16_e32 v85, v85, v3
	v_pack_b32_f16 v53, v65, v65
	v_pk_mul_f16 v82, v67, s9 op_sel_hi:[0,1]
	v_pk_mul_f16 v84, v69, s16 op_sel_hi:[0,1]
	s_mov_b32 s9, 0xb5c8
	v_mul_f16_e32 v92, 0x3b76, v69
	v_add_f16_e32 v93, v94, v93
	v_fma_f16 v94, v59, s7, v91
	v_pk_add_f16 v76, v76, v83
	v_pk_mul_f16 v83, v52, s14
	s_mov_b32 s14, 0xbacdbbdd
	v_add_f16_e32 v85, v85, v2
	v_add_f16_e32 v93, v94, v93
	v_fma_f16 v94, v60, s9, v92
	v_pk_add_f16 v77, v77, v84
	v_pk_mul_f16 v84, v53, s14
	v_add_f16_e32 v85, v85, v0
	s_mov_b32 s14, 0xffff
	v_alignbit_b32 v86, s0, v38, 16
	v_add_f16_e32 v93, v94, v93
	v_pk_add_f16 v94, v71, v79
	v_bfi_b32 v71, s14, v85, v71
	v_bfi_b32 v79, s14, v35, v79
	v_pk_add_f16 v86, v86, v94
	v_pk_add_f16 v73, v73, v80
	;; [unrolled: 1-line block ×5, first 2 shown]
	v_bfi_b32 v73, s14, v36, v73
	v_pk_add_f16 v75, v75, v82
	v_pk_add_f16 v71, v71, v73
	;; [unrolled: 1-line block ×3, first 2 shown]
	v_bfi_b32 v74, s14, v37, v74
	v_pk_add_f16 v71, v71, v74
	v_bfi_b32 v74, s14, v39, v75
	v_pk_add_f16 v71, v71, v74
	;; [unrolled: 2-line block ×3, first 2 shown]
	v_pk_add_f16 v71, v71, v74
	v_bfi_b32 v74, s14, v41, v77
	v_pk_add_f16 v73, v76, v73
	v_pk_add_f16 v71, v71, v74
	v_bfi_b32 v74, s14, v42, v78
	v_pk_add_f16 v73, v77, v73
	v_pk_add_f16 v71, v71, v74
	v_mul_f16_e32 v74, 0xbacd, v62
	v_mul_f16_e32 v77, 0xb836, v66
	;; [unrolled: 1-line block ×3, first 2 shown]
	v_pack_b32_f16 v73, v73, v74
	s_mov_b32 s16, 0xbbf7
	v_pack_b32_f16 v74, v78, v77
	v_pk_add_f16 v73, v74, v73
	v_fma_f16 v74, v61, s16, v76
	s_mov_b32 s16, 0x5040100
	v_perm_b32 v74, v74, v72, s16
	v_pk_add_f16 v72, v72, v81
	v_perm_b32 v78, v93, v81, s16
	v_pack_b32_f16 v55, v17, v17
	v_bfi_b32 v72, s14, v43, v72
	v_pk_add_f16 v74, v74, v78
	s_mov_b32 s16, 0xbbb2bbf7
	v_pack_b32_f16 v57, v44, v44
	v_pack_b32_f16 v50, v63, v63
	s_mov_b32 s15, 0x39e9b461
	v_pk_add_f16 v71, v71, v72
	v_pk_add_f16 v72, v73, v74
	s_mov_b32 s17, 0x3836b1e1
	v_pk_fma_f16 v73, v55, s16, v83
	v_pack_b32_f16 v54, v1, v1
	v_pack_b32_f16 v48, v67, v67
	v_pk_mul_f16 v85, v50, s15
	s_mov_b32 s15, 0x37223b76
	v_pk_add_f16 v73, v56, v73
	v_pk_fma_f16 v74, v57, s17, v84
	s_mov_b32 s16, 0x39643bb2
	v_pack_b32_f16 v51, v58, v58
	v_pack_b32_f16 v46, v68, v68
	v_pk_mul_f16 v79, v48, s15
	s_mov_b32 s15, 0xbbdd3722
	v_pk_add_f16 v73, v74, v73
	v_pk_fma_f16 v74, v54, s16, v85
	s_mov_b32 s16, 0xbb2935c8
	;; [unrolled: 7-line block ×3, first 2 shown]
	v_pack_b32_f16 v47, v60, v60
	v_pack_b32_f16 v34, v70, v70
	v_pk_mul_f16 v86, v45, s15
	s_mov_b32 s15, 0x3b76b8d2
	v_pk_add_f16 v73, v74, v73
	s_mov_b32 s17, 0x3bf7b836
	v_pk_fma_f16 v74, v49, s16, v95
	v_pack_b32_f16 v94, v61, v61
	v_pack_b32_f16 v80, v62, v62
	v_pk_mul_f16 v75, v34, s15
	s_mov_b32 s15, 0xb8d239e9
	s_mov_b32 s18, 0xb5c83a62
	v_pk_add_f16 v73, v74, v73
	v_pk_fma_f16 v74, v47, s17, v86
	v_pack_b32_f16 v82, v66, v66
	v_pk_add_f16 v73, v74, v73
	v_pk_fma_f16 v74, v94, s18, v75
	v_pk_mul_f16 v78, v80, s15
	s_mov_b32 s15, 0xba623964
	v_pk_add_f16 v73, v74, v73
	v_pk_fma_f16 v74, v82, s15, v78
	s_mov_b32 s15, 0xbacdb8d2
	v_pk_mul_f16 v81, v52, s15
	s_mov_b32 s15, 0xb836ba62
	s_mov_b32 s16, 0x3722b461
	v_pk_add_f16 v73, v74, v73
	s_mov_b32 s17, 0x3b293bb2
	v_pk_fma_f16 v74, v55, s15, v81
	v_pk_mul_f16 v93, v53, s16
	v_pk_add_f16 v74, v56, v74
	v_pk_fma_f16 v96, v57, s17, v93
	s_mov_b32 s16, 0x2de83b76
	v_pk_add_f16 v74, v96, v74
	s_mov_b32 s18, 0xbbf7b5c8
	v_pk_mul_f16 v96, v50, s16
	v_pk_fma_f16 v97, v54, s18, v96
	s_mov_b32 s16, 0xb8d2bacd
	v_pk_add_f16 v74, v97, v74
	s_mov_b32 s19, 0x3a62b836
	v_pk_mul_f16 v97, v48, s16
	;; [unrolled: 5-line block ×6, first 2 shown]
	v_pk_fma_f16 v102, v82, s25, v101
	v_pk_add_f16 v74, v102, v74
	v_mul_u32_u24_e32 v102, 34, v11
	v_add3_u32 v102, 0, v102, v8
	v_mul_f16_e32 v64, 0xbbdd, v64
	s_mov_b32 s16, 0xb1e1
	ds_write_b128 v102, v[71:74]
	v_mul_f16_e32 v65, 0x3b76, v65
	s_movk_i32 s26, 0x35c8
	v_fma_f16 v71, v17, s16, v64
	v_add_f16_sdwa v71, v38, v71 dst_sel:DWORD dst_unused:UNUSED_PAD src0_sel:WORD_1 src1_sel:DWORD
	v_fma_f16 v72, v44, s26, v65
	v_mul_f16_e32 v63, 0xbacd, v63
	s_mov_b32 s27, 0xb836
	v_add_f16_e32 v71, v72, v71
	v_fma_f16 v72, v1, s27, v63
	v_mul_f16_e32 v67, 0x39e9, v67
	v_add_f16_e32 v71, v72, v71
	v_fma_f16 v72, v58, s7, v67
	v_mul_f16_e32 v68, 0xb8d2, v68
	;; [unrolled: 3-line block ×3, first 2 shown]
	s_movk_i32 s7, 0x3b29
	v_add_f16_e32 v71, v72, v71
	v_fma_f16 v72, v60, s7, v69
	v_mul_f16_e32 v70, 0xb461, v70
	s_mov_b32 s27, 0xbbb2
	v_add_f16_e32 v71, v72, v71
	v_fma_f16 v72, v61, s27, v70
	v_add_f16_e32 v71, v72, v71
	s_movk_i32 s28, 0x3bf7
	v_mul_f16_e32 v72, 0x2de8, v62
	v_fma_f16 v73, v66, s28, v72
	v_add_f16_e32 v71, v73, v71
	v_fma_f16 v73, v55, s28, v83
	v_add_f16_sdwa v73, v38, v73 dst_sel:DWORD dst_unused:UNUSED_PAD src0_sel:WORD_1 src1_sel:DWORD
	v_fma_f16 v74, v57, s8, v84
	v_add_f16_e32 v73, v74, v73
	v_fma_f16 v74, v54, s27, v85
	v_add_f16_e32 v73, v74, v73
	;; [unrolled: 2-line block ×3, first 2 shown]
	v_fma_f16 v74, v49, s7, v95
	s_movk_i32 s8, 0x3836
	v_add_f16_e32 v73, v74, v73
	v_fma_f16 v74, v47, s8, v86
	v_add_f16_e32 v73, v74, v73
	v_fma_f16 v74, v94, s6, v75
	s_mov_b32 s6, 0xb964
	v_add_f16_e32 v73, v74, v73
	v_fma_f16 v74, v82, s6, v78
	v_add_f16_e32 v73, v74, v73
	v_mul_f16_e32 v74, 0xb1e1, v17
	v_fma_f16 v17, v17, s7, v87
	s_movk_i32 s8, 0x3a62
	v_mul_f16_e32 v75, 0x35c8, v44
	v_fma_f16 v44, v44, s8, v88
	v_add_f16_sdwa v17, v38, v17 dst_sel:DWORD dst_unused:UNUSED_PAD src0_sel:WORD_1 src1_sel:DWORD
	v_mul_f16_e32 v78, 0xb836, v1
	v_add_f16_e32 v17, v44, v17
	v_fma_f16 v1, v1, s16, v89
	v_mul_f16_e32 v44, 0x3964, v58
	v_add_f16_e32 v1, v1, v17
	v_fma_f16 v58, v58, s27, v90
	v_add_f16_e32 v1, v58, v1
	v_pk_mul_f16 v58, v55, s15
	v_mul_f16_e32 v79, 0xba62, v59
	v_fma_f16 v59, v59, s6, v91
	v_pk_mul_f16 v84, v57, s17
	v_bfi_b32 v64, s14, v64, v81
	v_bfi_b32 v58, s14, v74, v58
	v_add_f16_e32 v1, v59, v1
	v_pk_mul_f16 v59, v54, s18
	v_pk_add_f16 v58, v64, v58 neg_lo:[0,1] neg_hi:[0,1]
	v_bfi_b32 v64, s14, v65, v93
	v_bfi_b32 v65, s14, v75, v84
	v_pk_add_f16 v58, v56, v58
	v_pk_add_f16 v64, v64, v65 neg_lo:[0,1] neg_hi:[0,1]
	v_bfi_b32 v63, s14, v63, v96
	v_bfi_b32 v59, s14, v78, v59
	v_pk_mul_f16 v85, v51, s19
	v_pk_add_f16 v58, v64, v58
	v_pk_add_f16 v59, v63, v59 neg_lo:[0,1] neg_hi:[0,1]
	v_mul_f16_e32 v17, 0x3b29, v60
	v_fma_f16 v60, v60, s26, v92
	v_pk_add_f16 v58, v59, v58
	v_bfi_b32 v59, s14, v67, v97
	v_bfi_b32 v44, s14, v44, v85
	v_mul_f16_e32 v83, 0xbbb2, v61
	v_add_f16_e32 v1, v60, v1
	v_fma_f16 v60, v61, s28, v76
	v_pk_mul_f16 v61, v49, s22
	v_pk_add_f16 v44, v59, v44 neg_lo:[0,1] neg_hi:[0,1]
	s_mov_b32 s7, 0xbacd
	v_pk_add_f16 v44, v44, v58
	v_bfi_b32 v58, s14, v68, v98
	v_bfi_b32 v59, s14, v79, v61
	v_add_f16_e32 v1, v60, v1
	v_fma_f16 v60, v62, s7, -v77
	v_pk_mul_f16 v62, v47, s23
	v_pk_add_f16 v58, v58, v59 neg_lo:[0,1] neg_hi:[0,1]
	v_pk_add_f16 v44, v58, v44
	v_bfi_b32 v58, s14, v69, v99
	v_bfi_b32 v17, s14, v17, v62
	v_add_f16_e32 v1, v60, v1
	v_pk_mul_f16 v60, v94, s24
	v_pk_add_f16 v17, v58, v17 neg_lo:[0,1] neg_hi:[0,1]
	v_pk_add_f16 v17, v17, v44
	v_bfi_b32 v44, s14, v70, v100
	v_bfi_b32 v58, s14, v83, v60
	v_mul_f16_e32 v66, 0x3bf7, v66
	v_pk_mul_f16 v76, v82, s25
	v_pk_add_f16 v44, v44, v58 neg_lo:[0,1] neg_hi:[0,1]
	v_pk_add_f16 v17, v44, v17
	v_bfi_b32 v44, s14, v72, v101
	v_bfi_b32 v58, s14, v66, v76
	v_pk_add_f16 v44, v44, v58 neg_lo:[0,1] neg_hi:[0,1]
	s_mov_b32 s7, 0x3bb23a62
	v_pk_add_f16 v17, v44, v17
	s_mov_b32 s6, 0xb461b8d2
	v_pk_mul_f16 v44, v55, s7
	s_mov_b32 s7, 0xb836bbb2
	v_pk_fma_f16 v44, v52, s6, v44
	s_mov_b32 s6, 0xbacdb461
	v_pk_mul_f16 v52, v57, s7
	v_pk_add_f16 v44, v56, v44
	v_pk_fma_f16 v52, v53, s6, v52
	s_mov_b32 s7, 0xb96435c8
	v_pk_add_f16 v44, v52, v44
	s_mov_b32 s6, 0x39e93b76
	v_pk_mul_f16 v52, v54, s7
	v_pk_fma_f16 v50, v50, s6, v52
	s_mov_b32 s7, 0x3b293836
	v_pk_add_f16 v44, v50, v44
	s_mov_b32 s6, 0x3722bacd
	v_pk_mul_f16 v50, v51, s7
	;; [unrolled: 5-line block ×6, first 2 shown]
	v_pk_fma_f16 v44, v80, s6, v44
	v_pk_add_f16 v34, v44, v34
	v_alignbit_b32 v45, v34, v17, 16
	v_pack_b32_f16 v44, v71, v17
	v_alignbit_b32 v46, v73, v34, 16
	ds_write_b96 v102, v[44:46] offset:16
	ds_write_b16 v102, v1 offset:28
	ds_write_b32 v102, v9 offset:30
.LBB0_14:
	s_or_b64 exec, exec, s[0:1]
	v_lshlrev_b32_e32 v1, 1, v11
	v_add3_u32 v17, 0, v8, v1
	v_add_u32_e32 v1, 0, v1
	s_waitcnt lgkmcnt(0)
	s_barrier
	v_add_u32_e32 v34, v1, v8
	ds_read_u16 v46, v17
	ds_read_u16 v45, v34 offset:170
	ds_read_u16 v52, v34 offset:714
	;; [unrolled: 1-line block ×14, first 2 shown]
	v_cmp_gt_u32_e64 s[0:1], 17, v11
                                        ; implicit-def: $vgpr47
                                        ; implicit-def: $vgpr53
                                        ; implicit-def: $vgpr56
	s_and_saveexec_b64 s[6:7], s[0:1]
	s_cbranch_execz .LBB0_16
; %bb.15:
	ds_read_u16 v9, v34 offset:510
	ds_read_u16 v62, v34 offset:1054
	;; [unrolled: 1-line block ×5, first 2 shown]
	s_mov_b32 s8, 0x5040100
	s_waitcnt lgkmcnt(3)
	v_perm_b32 v9, v62, v9, s8
.LBB0_16:
	s_or_b64 exec, exec, s[6:7]
	v_sub_f16_e32 v70, v15, v43
	s_mov_b32 s6, 0xb5c8b964
	v_add_f16_e32 v69, v18, v33
	v_sub_f16_e32 v43, v3, v39
	v_sub_f16_e32 v39, v0, v36
	s_mov_b32 s9, 0x3b7639e9
	v_pk_mul_f16 v0, v70, s6 op_sel_hi:[0,1]
	v_sub_f16_e32 v67, v14, v42
	v_sub_f16_e32 v65, v13, v41
	;; [unrolled: 1-line block ×3, first 2 shown]
	v_pk_fma_f16 v2, v69, s9, v0 op_sel_hi:[0,1,1]
	s_mov_b32 s6, 0xb964bbf7
	v_add_f16_e32 v66, v19, v32
	v_pk_add_f16 v3, v16, v2 op_sel_hi:[0,1]
	s_mov_b32 s8, 0x39e92de8
	v_pk_mul_f16 v2, v67, s6 op_sel_hi:[0,1]
	v_sub_f16_e32 v63, v12, v40
	v_pk_fma_f16 v12, v66, s8, v2 op_sel_hi:[0,1,1]
	s_mov_b32 s6, 0xbb29ba62
	v_add_f16_e32 v64, v20, v31
	v_pk_add_f16 v3, v12, v3
	s_mov_b32 s14, 0x3722b8d2
	v_pk_mul_f16 v12, v65, s6 op_sel_hi:[0,1]
	v_pk_fma_f16 v13, v64, s14, v12 op_sel_hi:[0,1,1]
	s_mov_b32 s6, 0xbbf7b1e1
	v_add_f16_e32 v62, v21, v30
	v_pk_add_f16 v3, v13, v3
	s_mov_b32 s15, 0x2de8bbdd
	v_pk_mul_f16 v13, v63, s6 op_sel_hi:[0,1]
	;; [unrolled: 6-line block ×4, first 2 shown]
	v_sub_f16_e32 v35, v35, v38
	v_pk_fma_f16 v38, v40, s19, v36 op_sel_hi:[0,1,1]
	s_mov_b32 s6, 0xb8363b29
	v_add_f16_e32 v37, v24, v27
	v_pk_add_f16 v3, v38, v3
	s_mov_b32 s18, 0xbacd3722
	v_pk_mul_f16 v38, v39, s6 op_sel_hi:[0,1]
	v_pk_fma_f16 v68, v37, s18, v38 op_sel_hi:[0,1,1]
	s_mov_b32 s6, 0xb1e135c8
	v_add_f16_e32 v15, v25, v26
	v_pk_add_f16 v3, v68, v3
	s_mov_b32 s17, 0xbbdd3b76
	v_pk_mul_f16 v68, v35, s6 op_sel_hi:[0,1]
	v_pk_fma_f16 v71, v15, s17, v68 op_sel_hi:[0,1,1]
	v_pk_add_f16 v3, v71, v3
	s_waitcnt lgkmcnt(0)
	s_barrier
	s_and_saveexec_b64 s[6:7], s[2:3]
	s_cbranch_execz .LBB0_18
; %bb.17:
	v_pack_b32_f16 v71, v69, v69
	v_pk_mul_f16 v69, v69, s9 op_sel_hi:[0,1]
	s_mov_b32 s2, 0x5040100
	v_perm_b32 v72, v16, v16, s2
	v_pack_b32_f16 v73, v66, v66
	v_pk_mul_f16 v66, v66, s8 op_sel_hi:[0,1]
	v_pk_add_f16 v0, v69, v0 neg_lo:[0,1] neg_hi:[0,1]
	v_pack_b32_f16 v74, v64, v64
	v_pk_mul_f16 v64, v64, s14 op_sel_hi:[0,1]
	v_pk_add_f16 v0, v72, v0
	v_pk_add_f16 v2, v66, v2 neg_lo:[0,1] neg_hi:[0,1]
	v_pack_b32_f16 v75, v62, v62
	v_pk_mul_f16 v62, v62, s15 op_sel_hi:[0,1]
	v_pk_add_f16 v0, v2, v0
	;; [unrolled: 4-line block ×6, first 2 shown]
	v_pk_add_f16 v2, v37, v38 neg_lo:[0,1] neg_hi:[0,1]
	v_pack_b32_f16 v70, v70, v70
	v_pk_add_f16 v0, v2, v0
	v_pk_add_f16 v2, v15, v68 neg_lo:[0,1] neg_hi:[0,1]
	s_mov_b32 s3, 0xbbf7bb29
	v_pack_b32_f16 v67, v67, v67
	v_pk_add_f16 v0, v2, v0
	s_mov_b32 s2, 0x2de83722
	v_pk_mul_f16 v2, v70, s3
	s_mov_b32 s22, 0xb1e1ba62
	v_pack_b32_f16 v65, v65, v65
	v_pk_fma_f16 v12, v71, s2, v2 neg_lo:[0,0,1] neg_hi:[0,0,1]
	s_mov_b32 s3, 0xbbddb8d2
	v_pk_mul_f16 v14, v67, s22
	s_mov_b32 s23, 0x3bb231e1
	v_pack_b32_f16 v63, v63, v63
	v_pk_add_f16 v12, v72, v12
	v_pk_fma_f16 v13, v73, s3, v14 neg_lo:[0,0,1] neg_hi:[0,0,1]
	s_mov_b32 s22, 0xb461bbdd
	v_pk_mul_f16 v15, v65, s23
	s_mov_b32 s24, 0x35c83bb2
	v_pack_b32_f16 v43, v43, v43
	v_add_f16_e32 v16, v16, v18
	v_pk_add_f16 v12, v13, v12
	v_pk_fma_f16 v13, v74, s22, v15 neg_lo:[0,0,1] neg_hi:[0,0,1]
	s_mov_b32 s23, 0x3b76b461
	v_pk_mul_f16 v18, v63, s24
	s_mov_b32 s25, 0xbb293964
	v_pack_b32_f16 v41, v41, v41
	v_add_f16_e32 v16, v16, v19
	;; [unrolled: 7-line block ×4, first 2 shown]
	v_pk_add_f16 v12, v13, v12
	v_pk_fma_f16 v13, v77, s25, v20 neg_lo:[0,0,1] neg_hi:[0,0,1]
	s_mov_b32 s26, 0xb8d22de8
	v_pk_mul_f16 v21, v39, s27
	s_mov_b32 s28, 0x3964b836
	v_add_f16_e32 v16, v16, v22
	v_pk_add_f16 v12, v13, v12
	v_pk_fma_f16 v13, v78, s26, v21 neg_lo:[0,0,1] neg_hi:[0,0,1]
	s_mov_b32 s27, 0x39e9bacd
	v_pk_mul_f16 v22, v35, s28
	v_pk_add_f16 v12, v13, v12
	v_pk_fma_f16 v13, v79, s27, v22 neg_lo:[0,0,1] neg_hi:[0,0,1]
	v_pk_fma_f16 v2, v71, s2, v2
	v_pk_add_f16 v13, v13, v12
	v_pk_add_f16 v2, v72, v2
	v_pk_fma_f16 v12, v73, s3, v14
	v_pk_add_f16 v2, v12, v2
	v_pk_fma_f16 v12, v74, s22, v15
	;; [unrolled: 2-line block ×7, first 2 shown]
	s_mov_b32 s2, 0xba62bbb2
	v_pk_add_f16 v2, v12, v2
	v_pk_mul_f16 v12, v70, s2
	s_mov_b32 s2, 0x3bb23836
	v_pk_fma_f16 v14, v71, s19, v12 neg_lo:[0,0,1] neg_hi:[0,0,1]
	v_pk_mul_f16 v15, v67, s2
	v_pk_add_f16 v14, v72, v14
	v_pk_fma_f16 v18, v73, s16, v15 neg_lo:[0,0,1] neg_hi:[0,0,1]
	s_mov_b32 s2, 0xb5c83964
	v_pk_add_f16 v14, v18, v14
	v_pk_mul_f16 v18, v65, s2
	v_pk_fma_f16 v19, v74, s9, v18 neg_lo:[0,0,1] neg_hi:[0,0,1]
	s_mov_b32 s2, 0xb836bb29
	v_pk_add_f16 v14, v19, v14
	v_pk_mul_f16 v19, v63, s2
	;; [unrolled: 4-line block ×3, first 2 shown]
	v_pk_fma_f16 v12, v71, s19, v12
	v_pk_fma_f16 v21, v76, s15, v20 neg_lo:[0,0,1] neg_hi:[0,0,1]
	s_mov_b32 s2, 0xb9643bf7
	v_pk_add_f16 v12, v72, v12
	v_pk_fma_f16 v15, v73, s16, v15
	v_pk_add_f16 v14, v21, v14
	v_pk_mul_f16 v21, v41, s2
	v_pk_add_f16 v12, v15, v12
	v_pk_fma_f16 v15, v74, s9, v18
	v_pk_fma_f16 v22, v77, s8, v21 neg_lo:[0,0,1] neg_hi:[0,0,1]
	s_mov_b32 s2, 0xb1e1b5c8
	v_pk_add_f16 v12, v15, v12
	v_pk_fma_f16 v15, v75, s18, v19
	v_pk_add_f16 v14, v22, v14
	v_pk_mul_f16 v22, v39, s2
	v_pk_add_f16 v12, v15, v12
	v_pk_fma_f16 v15, v76, s15, v20
	v_add_f16_e32 v16, v16, v23
	v_pk_fma_f16 v23, v78, s17, v22 neg_lo:[0,0,1] neg_hi:[0,0,1]
	s_mov_b32 s2, 0x3b29ba62
	v_pk_add_f16 v12, v15, v12
	v_pk_fma_f16 v15, v77, s8, v21
	v_pk_add_f16 v14, v23, v14
	v_pk_mul_f16 v23, v35, s2
	v_pk_add_f16 v12, v15, v12
	v_pk_fma_f16 v15, v78, s17, v22
	v_pk_add_f16 v12, v15, v12
	v_pk_fma_f16 v15, v79, s14, v23
	s_mov_b32 s3, 0xb1e1b836
	v_pk_add_f16 v18, v15, v12
	s_mov_b32 s2, 0xbbddbacd
	v_pk_mul_f16 v12, v70, s3
	s_mov_b32 s8, 0x35c83b29
	v_pk_fma_f16 v15, v71, s2, v12 neg_lo:[0,0,1] neg_hi:[0,0,1]
	s_mov_b32 s3, 0x3b763722
	v_pk_mul_f16 v19, v67, s8
	v_pk_add_f16 v15, v72, v15
	v_pk_fma_f16 v20, v73, s3, v19 neg_lo:[0,0,1] neg_hi:[0,0,1]
	s_mov_b32 s9, 0xb836bbf7
	v_pk_add_f16 v15, v20, v15
	s_mov_b32 s8, 0xbacd2de8
	v_pk_mul_f16 v20, v65, s9
	v_add_f16_e32 v16, v16, v24
	v_pk_fma_f16 v24, v79, s14, v23 neg_lo:[0,0,1] neg_hi:[0,0,1]
	v_pk_fma_f16 v21, v74, s8, v20 neg_lo:[0,0,1] neg_hi:[0,0,1]
	s_mov_b32 s14, 0x39643a62
	v_pk_add_f16 v15, v21, v15
	s_mov_b32 s9, 0x39e9b8d2
	v_pk_mul_f16 v21, v63, s14
	v_pk_fma_f16 v22, v75, s9, v21 neg_lo:[0,0,1] neg_hi:[0,0,1]
	s_mov_b32 s15, 0xba62b5c8
	v_pk_add_f16 v15, v22, v15
	s_mov_b32 s14, 0xb8d23b76
	v_pk_mul_f16 v22, v43, s15
	v_pk_fma_f16 v12, v71, s2, v12
	v_add_f16_e32 v16, v16, v25
	v_pk_fma_f16 v23, v76, s14, v22 neg_lo:[0,0,1] neg_hi:[0,0,1]
	s_mov_b32 s16, 0x3b29b1e1
	v_pk_add_f16 v12, v72, v12
	v_pk_fma_f16 v19, v73, s3, v19
	v_add_f16_e32 v16, v16, v26
	v_pk_add_f16 v15, v23, v15
	s_mov_b32 s15, 0x3722bbdd
	v_pk_mul_f16 v23, v41, s16
	v_pk_add_f16 v12, v19, v12
	v_pk_fma_f16 v19, v74, s8, v20
	v_add_f16_e32 v16, v16, v27
	v_pk_add_f16 v14, v24, v14
	v_pk_fma_f16 v24, v77, s15, v23 neg_lo:[0,0,1] neg_hi:[0,0,1]
	s_mov_b32 s17, 0xbbb23964
	v_pk_add_f16 v12, v19, v12
	v_pk_fma_f16 v19, v75, s9, v21
	v_add_f16_e32 v16, v16, v28
	v_pk_add_f16 v15, v24, v15
	s_mov_b32 s16, 0xb46139e9
	v_pk_mul_f16 v24, v39, s17
	v_pk_add_f16 v12, v19, v12
	v_pk_fma_f16 v19, v76, s14, v22
	v_add_f16_e32 v16, v16, v29
	v_pk_fma_f16 v25, v78, s16, v24 neg_lo:[0,0,1] neg_hi:[0,0,1]
	s_mov_b32 s18, 0x3bf7bbb2
	v_pk_add_f16 v12, v19, v12
	v_pk_fma_f16 v19, v77, s15, v23
	v_add_f16_e32 v16, v16, v30
	v_pk_add_f16 v15, v25, v15
	s_mov_b32 s17, 0x2de8b461
	v_pk_mul_f16 v25, v35, s18
	v_pk_add_f16 v12, v19, v12
	v_pk_fma_f16 v19, v78, s16, v24
	v_add_f16_e32 v16, v16, v31
	v_pk_add_f16 v12, v19, v12
	v_pk_fma_f16 v19, v79, s17, v25
	v_add_f16_e32 v16, v16, v32
	v_pk_fma_f16 v26, v79, s17, v25 neg_lo:[0,0,1] neg_hi:[0,0,1]
	v_pk_add_f16 v19, v19, v12
	v_lshlrev_b32_e32 v12, 5, v11
	v_add_f16_e32 v16, v16, v33
	v_pk_add_f16 v15, v26, v15
	v_add3_u32 v20, v1, v12, v8
	v_alignbit_b32 v12, v0, v0, 16
	v_alignbit_b32 v0, v19, v19, 16
	;; [unrolled: 1-line block ×4, first 2 shown]
	ds_write_b16 v20, v16
	ds_write_b128 v20, v[12:15] offset:2
	ds_write_b128 v20, v[0:3] offset:18
.LBB0_18:
	s_or_b64 exec, exec, s[6:7]
	s_waitcnt lgkmcnt(0)
	s_barrier
	ds_read_u16 v2, v17
	ds_read_u16 v1, v34 offset:170
	ds_read_u16 v18, v34 offset:714
	;; [unrolled: 1-line block ×14, first 2 shown]
                                        ; implicit-def: $vgpr15
                                        ; implicit-def: $vgpr26
                                        ; implicit-def: $vgpr23
	s_and_saveexec_b64 s[2:3], s[0:1]
	s_cbranch_execz .LBB0_20
; %bb.19:
	ds_read_u16 v3, v34 offset:510
	ds_read_u16 v28, v34 offset:1054
	ds_read_u16 v23, v34 offset:1598
	ds_read_u16 v26, v34 offset:2142
	ds_read_u16 v15, v34 offset:2686
	s_mov_b32 s6, 0x5040100
	s_waitcnt lgkmcnt(3)
	v_perm_b32 v3, v28, v3, s6
.LBB0_20:
	s_or_b64 exec, exec, s[2:3]
	s_movk_i32 s2, 0xf1
	v_add_u16_e32 v33, 0x55, v11
	v_mul_lo_u16_sdwa v35, v33, s2 dst_sel:DWORD dst_unused:UNUSED_PAD src0_sel:BYTE_0 src1_sel:DWORD
	v_lshrrev_b16_e32 v75, 12, v35
	v_mul_lo_u16_e32 v35, 17, v75
	v_mov_b32_e32 v32, 4
	v_sub_u16_e32 v76, v33, v35
	v_lshlrev_b32_sdwa v33, v32, v76 dst_sel:DWORD dst_unused:UNUSED_PAD src0_sel:DWORD src1_sel:BYTE_0
	global_load_dwordx4 v[62:65], v33, s[12:13]
	v_add_u16_e32 v33, 0xaa, v11
	v_mul_lo_u16_sdwa v28, v11, s2 dst_sel:DWORD dst_unused:UNUSED_PAD src0_sel:BYTE_0 src1_sel:DWORD
	v_mul_lo_u16_sdwa v35, v33, s2 dst_sel:DWORD dst_unused:UNUSED_PAD src0_sel:BYTE_0 src1_sel:DWORD
	v_lshrrev_b16_e32 v42, 12, v28
	v_lshrrev_b16_e32 v77, 12, v35
	v_mul_lo_u16_e32 v28, 17, v42
	v_mul_lo_u16_e32 v35, 17, v77
	v_sub_u16_e32 v74, v11, v28
	v_sub_u16_e32 v78, v33, v35
	v_lshlrev_b32_sdwa v28, v32, v74 dst_sel:DWORD dst_unused:UNUSED_PAD src0_sel:DWORD src1_sel:BYTE_0
	v_lshlrev_b32_sdwa v32, v32, v78 dst_sel:DWORD dst_unused:UNUSED_PAD src0_sel:DWORD src1_sel:BYTE_0
	global_load_dwordx4 v[28:31], v28, s[12:13]
	s_mov_b32 s2, 0xf0f1
	global_load_dwordx4 v[66:69], v32, s[12:13]
	v_add_u32_e32 v32, 0xff, v11
	v_mul_u32_u24_sdwa v33, v32, s2 dst_sel:DWORD dst_unused:UNUSED_PAD src0_sel:WORD_0 src1_sel:DWORD
	v_lshrrev_b32_e32 v33, 20, v33
	v_mul_lo_u16_e32 v33, 17, v33
	v_sub_u16_e32 v79, v32, v33
	v_lshlrev_b32_e32 v32, 4, v79
	global_load_dwordx4 v[70:73], v32, s[12:13]
	s_mov_b32 s7, 0xbb9c
	s_movk_i32 s9, 0x3b9c
	s_mov_b32 s6, 0xb8b4
	s_movk_i32 s14, 0x38b4
	s_movk_i32 s8, 0x34f2
	;; [unrolled: 1-line block ×3, first 2 shown]
	v_mad_u32_u24 v42, v42, s2, 0
	v_lshrrev_b32_e32 v80, 16, v9
	v_lshrrev_b32_e32 v81, 16, v3
	s_waitcnt vmcnt(0) lgkmcnt(0)
	s_barrier
	v_mul_f16_sdwa v87, v12, v64 dst_sel:DWORD dst_unused:UNUSED_PAD src0_sel:DWORD src1_sel:WORD_1
	v_mul_f16_sdwa v84, v52, v62 dst_sel:DWORD dst_unused:UNUSED_PAD src0_sel:DWORD src1_sel:WORD_1
	;; [unrolled: 1-line block ×15, first 2 shown]
	v_fma_f16 v43, v59, v28, v32
	v_fma_f16 v58, v58, v29, v35
	;; [unrolled: 1-line block ×3, first 2 shown]
	v_mul_f16_sdwa v40, v61, v30 dst_sel:DWORD dst_unused:UNUSED_PAD src0_sel:DWORD src1_sel:WORD_1
	v_mul_f16_sdwa v91, v13, v66 dst_sel:DWORD dst_unused:UNUSED_PAD src0_sel:DWORD src1_sel:WORD_1
	;; [unrolled: 1-line block ×4, first 2 shown]
	v_fma_f16 v37, v24, v28, -v33
	v_fma_f16 v39, v22, v29, -v36
	v_fma_f16 v60, v60, v31, v41
	v_fma_f16 v41, v25, v31, -v82
	v_fma_f16 v36, v48, v64, v87
	v_add_f16_e32 v48, v58, v59
	v_mul_f16_sdwa v92, v49, v66 dst_sel:DWORD dst_unused:UNUSED_PAD src0_sel:DWORD src1_sel:WORD_1
	v_mul_f16_sdwa v93, v21, v67 dst_sel:DWORD dst_unused:UNUSED_PAD src0_sel:DWORD src1_sel:WORD_1
	;; [unrolled: 1-line block ×4, first 2 shown]
	v_fma_f16 v40, v27, v30, -v40
	v_fma_f16 v28, v18, v62, -v84
	v_fma_f16 v24, v49, v66, v91
	v_fma_f16 v18, v21, v67, -v94
	v_fma_f16 v21, v14, v69, -v98
	v_mul_f16_sdwa v14, v26, v72 dst_sel:DWORD dst_unused:UNUSED_PAD src0_sel:DWORD src1_sel:WORD_1
	v_fma_f16 v48, v48, -0.5, v46
	v_sub_f16_e32 v49, v37, v41
	v_mul_f16_sdwa v101, v23, v71 dst_sel:DWORD dst_unused:UNUSED_PAD src0_sel:DWORD src1_sel:WORD_1
	v_fma_f16 v33, v52, v62, v83
	v_fma_f16 v35, v51, v63, v85
	v_fma_f16 v30, v16, v63, -v86
	v_fma_f16 v16, v13, v66, -v92
	v_fma_f16 v29, v50, v69, v97
	v_fma_f16 v13, v23, v71, -v102
	v_fma_f16 v23, v53, v72, v14
	v_mul_f16_sdwa v14, v53, v72 dst_sel:DWORD dst_unused:UNUSED_PAD src0_sel:DWORD src1_sel:WORD_1
	v_fma_f16 v50, v49, s7, v48
	v_sub_f16_e32 v51, v39, v40
	v_sub_f16_e32 v52, v43, v58
	;; [unrolled: 1-line block ×3, first 2 shown]
	v_fma_f16 v48, v49, s9, v48
	v_fma_f16 v14, v26, v72, -v14
	v_mul_f16_sdwa v26, v15, v73 dst_sel:DWORD dst_unused:UNUSED_PAD src0_sel:DWORD src1_sel:WORD_1
	v_fma_f16 v50, v51, s6, v50
	v_add_f16_e32 v52, v52, v53
	v_fma_f16 v48, v51, s14, v48
	v_fma_f16 v26, v47, v73, v26
	v_mul_f16_sdwa v47, v47, v73 dst_sel:DWORD dst_unused:UNUSED_PAD src0_sel:DWORD src1_sel:WORD_1
	v_fma_f16 v50, v52, s8, v50
	v_fma_f16 v48, v52, s8, v48
	v_add_f16_e32 v52, v43, v60
	v_mul_f16_sdwa v95, v19, v68 dst_sel:DWORD dst_unused:UNUSED_PAD src0_sel:DWORD src1_sel:WORD_1
	v_fma_f16 v15, v15, v73, -v47
	v_add_f16_e32 v47, v46, v43
	v_fma_f16 v46, v52, -0.5, v46
	v_mul_f16_sdwa v96, v54, v68 dst_sel:DWORD dst_unused:UNUSED_PAD src0_sel:DWORD src1_sel:WORD_1
	v_fma_f16 v27, v54, v68, v95
	v_fma_f16 v52, v51, s9, v46
	v_sub_f16_e32 v53, v58, v43
	v_sub_f16_e32 v54, v59, v60
	v_fma_f16 v46, v51, s7, v46
	v_fma_f16 v32, v20, v65, -v90
	v_fma_f16 v52, v49, s6, v52
	v_add_f16_e32 v53, v53, v54
	v_fma_f16 v46, v49, s14, v46
	v_add_f16_e32 v51, v35, v36
	v_fma_f16 v31, v12, v64, -v88
	v_fma_f16 v38, v55, v65, v89
	v_fma_f16 v52, v53, s8, v52
	;; [unrolled: 1-line block ×3, first 2 shown]
	v_fma_f16 v51, v51, -0.5, v45
	v_sub_f16_e32 v53, v28, v32
	v_fma_f16 v25, v57, v67, v93
	v_fma_f16 v20, v19, v68, -v96
	v_fma_f16 v19, v56, v71, v101
	v_fma_f16 v54, v53, s7, v51
	v_sub_f16_e32 v55, v30, v31
	v_sub_f16_e32 v56, v33, v35
	;; [unrolled: 1-line block ×3, first 2 shown]
	v_fma_f16 v51, v53, s9, v51
	v_fma_f16 v54, v55, s6, v54
	v_add_f16_e32 v56, v56, v57
	v_fma_f16 v51, v55, s14, v51
	v_fma_f16 v54, v56, s8, v54
	;; [unrolled: 1-line block ×3, first 2 shown]
	v_add_f16_e32 v56, v33, v38
	v_add_f16_e32 v49, v45, v33
	v_fma_f16 v45, v56, -0.5, v45
	v_fma_f16 v56, v55, s9, v45
	v_sub_f16_e32 v57, v35, v33
	v_sub_f16_e32 v61, v36, v38
	v_fma_f16 v45, v55, s7, v45
	v_add_f16_e32 v57, v57, v61
	v_fma_f16 v45, v53, s14, v45
	v_fma_f16 v56, v53, s6, v56
	;; [unrolled: 1-line block ×3, first 2 shown]
	v_add_f16_e32 v45, v44, v24
	v_add_f16_e32 v45, v45, v25
	;; [unrolled: 1-line block ×5, first 2 shown]
	v_fma_f16 v56, v57, s8, v56
	v_fma_f16 v45, v45, -0.5, v44
	v_sub_f16_e32 v57, v16, v21
	v_fma_f16 v61, v57, s7, v45
	v_sub_f16_e32 v62, v18, v20
	v_sub_f16_e32 v63, v24, v25
	;; [unrolled: 1-line block ×3, first 2 shown]
	v_fma_f16 v45, v57, s9, v45
	v_fma_f16 v61, v62, s6, v61
	v_add_f16_e32 v63, v63, v64
	v_fma_f16 v45, v62, s14, v45
	v_fma_f16 v61, v63, s8, v61
	;; [unrolled: 1-line block ×3, first 2 shown]
	v_add_f16_e32 v45, v24, v29
	v_fma_f16 v44, v45, -0.5, v44
	v_fma_f16 v45, v62, s9, v44
	v_sub_f16_e32 v64, v25, v24
	v_sub_f16_e32 v65, v27, v29
	v_fma_f16 v44, v62, s7, v44
	v_add_f16_e32 v47, v47, v58
	v_add_f16_e32 v64, v64, v65
	v_fma_f16 v44, v57, s14, v44
	v_mov_b32_e32 v62, 1
	v_add_f16_e32 v47, v47, v59
	v_fma_f16 v45, v57, s6, v45
	v_fma_f16 v57, v64, s8, v44
	v_lshlrev_b32_sdwa v44, v62, v74 dst_sel:DWORD dst_unused:UNUSED_PAD src0_sel:DWORD src1_sel:BYTE_0
	v_add_f16_e32 v47, v47, v60
	v_add_f16_e32 v49, v49, v35
	v_fma_f16 v65, v64, s8, v45
	v_add3_u32 v44, v42, v44, v8
	v_mad_u32_u24 v42, v75, s2, 0
	v_lshlrev_b32_sdwa v45, v62, v76 dst_sel:DWORD dst_unused:UNUSED_PAD src0_sel:DWORD src1_sel:BYTE_0
	v_mul_f16_sdwa v99, v81, v70 dst_sel:DWORD dst_unused:UNUSED_PAD src0_sel:DWORD src1_sel:WORD_1
	v_mul_f16_sdwa v100, v80, v70 dst_sel:DWORD dst_unused:UNUSED_PAD src0_sel:DWORD src1_sel:WORD_1
	v_add_f16_e32 v49, v49, v36
	ds_write_b16 v44, v47
	ds_write_b16 v44, v50 offset:34
	ds_write_b16 v44, v52 offset:68
	;; [unrolled: 1-line block ×4, first 2 shown]
	v_add3_u32 v45, v42, v45, v8
	v_mad_u32_u24 v42, v77, s2, 0
	v_lshlrev_b32_sdwa v46, v62, v78 dst_sel:DWORD dst_unused:UNUSED_PAD src0_sel:DWORD src1_sel:BYTE_0
	v_fma_f16 v22, v80, v70, v99
	v_fma_f16 v12, v81, v70, -v100
	v_add_f16_e32 v49, v49, v38
	v_add3_u32 v46, v42, v46, v8
	v_lshlrev_b32_e32 v42, 1, v79
	ds_write_b16 v45, v49
	ds_write_b16 v45, v54 offset:34
	ds_write_b16 v45, v56 offset:68
	ds_write_b16 v45, v53 offset:102
	ds_write_b16 v45, v51 offset:136
	ds_write_b16 v46, v55
	ds_write_b16 v46, v61 offset:34
	ds_write_b16 v46, v65 offset:68
	;; [unrolled: 1-line block ×4, first 2 shown]
	s_and_saveexec_b64 s[2:3], s[0:1]
	s_cbranch_execz .LBB0_22
; %bb.21:
	v_add_f16_e32 v49, v22, v26
	v_sub_f16_e32 v47, v19, v22
	v_sub_f16_e32 v48, v23, v26
	v_fma_f16 v49, v49, -0.5, v9
	v_sub_f16_e32 v50, v13, v14
	v_add_f16_e32 v47, v47, v48
	v_sub_f16_e32 v48, v12, v15
	v_fma_f16 v51, v50, s7, v49
	v_fma_f16 v49, v50, s9, v49
	;; [unrolled: 1-line block ×6, first 2 shown]
	v_sub_f16_e32 v49, v22, v19
	v_sub_f16_e32 v52, v26, v23
	v_add_f16_e32 v49, v49, v52
	v_add_f16_e32 v52, v19, v23
	v_fma_f16 v52, v52, -0.5, v9
	v_add_f16_e32 v9, v9, v22
	v_fma_f16 v53, v48, s9, v52
	v_fma_f16 v48, v48, s7, v52
	v_add_f16_e32 v9, v9, v19
	v_fma_f16 v53, v50, s14, v53
	v_fma_f16 v48, v50, s6, v48
	;; [unrolled: 3-line block ×3, first 2 shown]
	v_add_f16_e32 v9, v9, v26
	v_add3_u32 v49, 0, v42, v8
	ds_write_b16 v49, v9 offset:2550
	ds_write_b16 v49, v48 offset:2584
	;; [unrolled: 1-line block ×5, first 2 shown]
.LBB0_22:
	s_or_b64 exec, exec, s[2:3]
	v_add_f16_e32 v9, v2, v37
	v_add_f16_e32 v9, v9, v39
	;; [unrolled: 1-line block ×5, first 2 shown]
	v_fma_f16 v9, v9, -0.5, v2
	v_sub_f16_e32 v43, v43, v60
	v_fma_f16 v48, v43, s9, v9
	v_sub_f16_e32 v49, v58, v59
	v_sub_f16_e32 v50, v37, v39
	v_sub_f16_e32 v51, v41, v40
	v_fma_f16 v9, v43, s7, v9
	v_fma_f16 v48, v49, s14, v48
	v_add_f16_e32 v50, v50, v51
	v_fma_f16 v9, v49, s6, v9
	v_fma_f16 v48, v50, s8, v48
	;; [unrolled: 1-line block ×3, first 2 shown]
	v_add_f16_e32 v9, v37, v41
	v_fma_f16 v2, v9, -0.5, v2
	v_fma_f16 v9, v49, s7, v2
	v_sub_f16_e32 v37, v39, v37
	v_sub_f16_e32 v39, v40, v41
	v_fma_f16 v2, v49, s9, v2
	v_fma_f16 v9, v43, s14, v9
	v_add_f16_e32 v37, v37, v39
	v_fma_f16 v2, v43, s6, v2
	v_fma_f16 v39, v37, s8, v9
	;; [unrolled: 1-line block ×3, first 2 shown]
	v_add_f16_e32 v2, v1, v28
	v_add_f16_e32 v2, v2, v30
	;; [unrolled: 1-line block ×5, first 2 shown]
	v_fma_f16 v2, v2, -0.5, v1
	v_sub_f16_e32 v9, v33, v38
	v_fma_f16 v33, v9, s9, v2
	v_sub_f16_e32 v35, v35, v36
	v_sub_f16_e32 v36, v28, v30
	;; [unrolled: 1-line block ×3, first 2 shown]
	v_fma_f16 v2, v9, s7, v2
	v_fma_f16 v33, v35, s14, v33
	v_add_f16_e32 v36, v36, v38
	v_fma_f16 v2, v35, s6, v2
	v_fma_f16 v33, v36, s8, v33
	;; [unrolled: 1-line block ×3, first 2 shown]
	v_add_f16_e32 v2, v28, v32
	v_fma_f16 v1, v2, -0.5, v1
	v_fma_f16 v2, v35, s7, v1
	v_sub_f16_e32 v28, v30, v28
	v_sub_f16_e32 v30, v31, v32
	v_fma_f16 v1, v35, s9, v1
	v_add_f16_e32 v28, v28, v30
	v_fma_f16 v1, v9, s6, v1
	v_fma_f16 v35, v28, s8, v1
	v_add_f16_e32 v1, v0, v16
	v_add_f16_e32 v1, v1, v18
	;; [unrolled: 1-line block ×3, first 2 shown]
	v_fma_f16 v2, v9, s14, v2
	v_add_f16_e32 v41, v1, v21
	v_add_f16_e32 v1, v18, v20
	v_fma_f16 v38, v28, s8, v2
	v_fma_f16 v1, v1, -0.5, v0
	v_sub_f16_e32 v2, v24, v29
	v_fma_f16 v9, v2, s9, v1
	v_sub_f16_e32 v24, v25, v27
	v_sub_f16_e32 v25, v16, v18
	;; [unrolled: 1-line block ×3, first 2 shown]
	v_fma_f16 v1, v2, s7, v1
	v_add_f16_e32 v25, v25, v27
	v_fma_f16 v1, v24, s6, v1
	v_fma_f16 v49, v25, s8, v1
	v_add_f16_e32 v1, v16, v21
	v_fma_f16 v9, v24, s14, v9
	v_fma_f16 v0, v1, -0.5, v0
	v_fma_f16 v43, v25, s8, v9
	v_fma_f16 v1, v24, s7, v0
	v_sub_f16_e32 v9, v18, v16
	v_sub_f16_e32 v16, v20, v21
	v_fma_f16 v0, v24, s9, v0
	v_fma_f16 v1, v2, s14, v1
	v_add_f16_e32 v9, v9, v16
	v_fma_f16 v0, v2, s6, v0
	v_fma_f16 v51, v9, s8, v1
	;; [unrolled: 1-line block ×3, first 2 shown]
	s_waitcnt lgkmcnt(0)
	s_barrier
	ds_read_u16 v0, v17
	ds_read_u16 v16, v34 offset:170
	ds_read_u16 v24, v34 offset:340
	;; [unrolled: 1-line block ×15, first 2 shown]
	s_waitcnt lgkmcnt(0)
	s_barrier
	ds_write_b16 v44, v47
	ds_write_b16 v44, v48 offset:34
	ds_write_b16 v44, v39 offset:68
	ds_write_b16 v44, v37 offset:102
	ds_write_b16 v44, v50 offset:136
	ds_write_b16 v45, v40
	ds_write_b16 v45, v33 offset:34
	ds_write_b16 v45, v38 offset:68
	ds_write_b16 v45, v35 offset:102
	ds_write_b16 v45, v36 offset:136
	;; [unrolled: 5-line block ×3, first 2 shown]
	s_and_saveexec_b64 s[2:3], s[0:1]
	s_cbranch_execz .LBB0_24
; %bb.23:
	v_add_f16_e32 v35, v13, v14
	v_fma_f16 v35, v35, -0.5, v3
	v_sub_f16_e32 v22, v22, v26
	s_movk_i32 s0, 0x3b9c
	v_fma_f16 v26, v22, s0, v35
	v_sub_f16_e32 v19, v19, v23
	s_movk_i32 s1, 0x38b4
	v_fma_f16 v23, v19, s1, v26
	v_sub_f16_e32 v26, v12, v13
	v_sub_f16_e32 v36, v15, v14
	v_fma_f16 v35, v22, s7, v35
	s_mov_b32 s8, 0xb8b4
	v_add_f16_e32 v26, v26, v36
	s_movk_i32 s6, 0x34f2
	v_fma_f16 v35, v19, s8, v35
	v_add_f16_e32 v33, v3, v12
	v_fma_f16 v23, v26, s6, v23
	v_fma_f16 v26, v26, s6, v35
	v_add_f16_e32 v35, v12, v15
	v_add_f16_e32 v33, v33, v13
	v_fma_f16 v3, v35, -0.5, v3
	v_add_f16_e32 v33, v33, v14
	v_fma_f16 v35, v19, s7, v3
	v_sub_f16_e32 v12, v13, v12
	v_sub_f16_e32 v13, v14, v15
	v_fma_f16 v3, v19, s0, v3
	v_add_f16_e32 v33, v33, v15
	v_fma_f16 v35, v22, s1, v35
	v_add_f16_e32 v12, v12, v13
	v_fma_f16 v3, v22, s8, v3
	v_add3_u32 v8, 0, v42, v8
	v_fma_f16 v13, v12, s6, v35
	v_fma_f16 v3, v12, s6, v3
	ds_write_b16 v8, v33 offset:2550
	ds_write_b16 v8, v23 offset:2584
	;; [unrolled: 1-line block ×5, first 2 shown]
.LBB0_24:
	s_or_b64 exec, exec, s[2:3]
	s_waitcnt lgkmcnt(0)
	s_barrier
	s_and_saveexec_b64 s[0:1], vcc
	s_cbranch_execz .LBB0_26
; %bb.25:
	v_mul_u32_u24_e32 v3, 15, v11
	v_lshlrev_b32_e32 v3, 2, v3
	global_load_dwordx4 v[11:14], v3, s[12:13] offset:272
	global_load_dwordx4 v[35:38], v3, s[12:13] offset:304
	;; [unrolled: 1-line block ×3, first 2 shown]
	global_load_dwordx3 v[43:45], v3, s[12:13] offset:320
	v_mul_lo_u32 v3, s5, v6
	v_mul_lo_u32 v8, s4, v7
	v_mad_u64_u32 v[6:7], s[0:1], s4, v6, 0
	ds_read_u16 v15, v34 offset:2550
	ds_read_u16 v19, v34 offset:2380
	;; [unrolled: 1-line block ×15, first 2 shown]
	ds_read_u16 v17, v17
	s_movk_i32 s0, 0x39a8
	v_add3_u32 v7, v7, v8, v3
	s_mov_b32 s1, 0xb9a8
	s_mov_b32 s2, 0xb61f
	;; [unrolled: 1-line block ×3, first 2 shown]
	s_movk_i32 s3, 0x3b64
	s_movk_i32 s5, 0x361f
	s_waitcnt vmcnt(3)
	v_mul_f16_sdwa v63, v29, v13 dst_sel:DWORD dst_unused:UNUSED_PAD src0_sel:DWORD src1_sel:WORD_1
	s_waitcnt vmcnt(2)
	v_mul_f16_sdwa v64, v31, v37 dst_sel:DWORD dst_unused:UNUSED_PAD src0_sel:DWORD src1_sel:WORD_1
	s_waitcnt lgkmcnt(3)
	v_mul_f16_sdwa v67, v52, v13 dst_sel:DWORD dst_unused:UNUSED_PAD src0_sel:DWORD src1_sel:WORD_1
	s_waitcnt vmcnt(0)
	v_lshrrev_b32_e32 v61, 16, v45
	v_mul_f16_e32 v66, v32, v45
	v_mul_f16_sdwa v68, v26, v37 dst_sel:DWORD dst_unused:UNUSED_PAD src0_sel:DWORD src1_sel:WORD_1
	v_mul_f16_sdwa v72, v24, v12 dst_sel:DWORD dst_unused:UNUSED_PAD src0_sel:DWORD src1_sel:WORD_1
	v_fma_f16 v52, v52, v13, -v63
	v_fma_f16 v26, v26, v37, -v64
	v_fma_f16 v64, v15, v61, v66
	v_fma_f16 v13, v29, v13, v67
	;; [unrolled: 1-line block ×3, first 2 shown]
	v_mul_f16_e32 v31, v32, v61
	s_waitcnt lgkmcnt(2)
	v_fma_f16 v61, v53, v12, -v72
	v_mul_f16_sdwa v53, v53, v12 dst_sel:DWORD dst_unused:UNUSED_PAD src0_sel:DWORD src1_sel:WORD_1
	v_mul_f16_sdwa v3, v16, v11 dst_sel:DWORD dst_unused:UNUSED_PAD src0_sel:DWORD src1_sel:WORD_1
	v_lshrrev_b32_e32 v56, 16, v41
	v_mul_f16_e32 v65, v30, v41
	v_mul_f16_sdwa v73, v27, v36 dst_sel:DWORD dst_unused:UNUSED_PAD src0_sel:DWORD src1_sel:WORD_1
	v_fma_f16 v12, v24, v12, v53
	v_mul_f16_sdwa v24, v33, v36 dst_sel:DWORD dst_unused:UNUSED_PAD src0_sel:DWORD src1_sel:WORD_1
	v_lshrrev_b32_e32 v57, 16, v42
	v_mul_f16_sdwa v70, v1, v14 dst_sel:DWORD dst_unused:UNUSED_PAD src0_sel:DWORD src1_sel:WORD_1
	s_waitcnt lgkmcnt(1)
	v_fma_f16 v3, v34, v11, -v3
	v_fma_f16 v63, v48, v56, v65
	v_fma_f16 v65, v33, v36, -v73
	v_fma_f16 v24, v27, v36, v24
	v_mul_f16_sdwa v34, v34, v11 dst_sel:DWORD dst_unused:UNUSED_PAD src0_sel:DWORD src1_sel:WORD_1
	v_mul_f16_sdwa v36, v51, v14 dst_sel:DWORD dst_unused:UNUSED_PAD src0_sel:DWORD src1_sel:WORD_1
	;; [unrolled: 1-line block ×3, first 2 shown]
	v_lshrrev_b32_e32 v54, 16, v39
	v_lshrrev_b32_e32 v55, 16, v40
	v_mul_f16_e32 v58, v18, v39
	v_lshrrev_b32_e32 v59, 16, v43
	v_lshrrev_b32_e32 v60, 16, v44
	v_mul_f16_e32 v62, v21, v43
	v_mul_f16_e32 v69, v9, v42
	;; [unrolled: 1-line block ×4, first 2 shown]
	v_fma_f16 v37, v51, v14, -v70
	v_fma_f16 v11, v16, v11, v34
	v_mul_f16_sdwa v16, v46, v35 dst_sel:DWORD dst_unused:UNUSED_PAD src0_sel:DWORD src1_sel:WORD_1
	v_mul_f16_e32 v9, v9, v57
	v_fma_f16 v1, v1, v14, v36
	v_mul_f16_sdwa v14, v23, v38 dst_sel:DWORD dst_unused:UNUSED_PAD src0_sel:DWORD src1_sel:WORD_1
	v_mul_f16_sdwa v71, v2, v38 dst_sel:DWORD dst_unused:UNUSED_PAD src0_sel:DWORD src1_sel:WORD_1
	v_fma_f16 v8, v46, v35, -v8
	v_fma_f16 v58, v50, v54, v58
	v_fma_f16 v62, v22, v59, v62
	v_mul_f16_e32 v30, v30, v56
	v_fma_f16 v32, v47, v57, v69
	v_fma_f16 v66, v49, v55, v74
	;; [unrolled: 1-line block ×3, first 2 shown]
	v_mul_f16_e32 v25, v25, v55
	v_mul_f16_e32 v27, v28, v60
	v_fma_f16 v16, v20, v35, v16
	v_mul_f16_e32 v18, v18, v54
	v_mul_f16_e32 v20, v21, v59
	v_fma_f16 v9, v47, v42, -v9
	v_fma_f16 v2, v2, v38, v14
	v_fma_f16 v56, v23, v38, -v71
	v_sub_f16_e32 v8, v3, v8
	v_sub_f16_e32 v62, v58, v62
	;; [unrolled: 1-line block ×4, first 2 shown]
	v_fma_f16 v30, v48, v41, -v30
	v_fma_f16 v15, v15, v45, -v31
	v_sub_f16_e32 v41, v61, v65
	v_sub_f16_e32 v69, v66, v69
	v_fma_f16 v25, v49, v40, -v25
	v_fma_f16 v19, v19, v44, -v27
	;; [unrolled: 1-line block ×4, first 2 shown]
	s_waitcnt lgkmcnt(0)
	v_sub_f16_e32 v9, v17, v9
	v_sub_f16_e32 v2, v1, v2
	;; [unrolled: 1-line block ×14, first 2 shown]
	v_add_f16_e32 v56, v31, v32
	v_fma_f16 v65, v48, s0, v45
	v_add_f16_e32 v67, v29, v15
	v_add_f16_e32 v27, v24, v19
	;; [unrolled: 1-line block ×3, first 2 shown]
	v_fma_f16 v23, v70, s0, v14
	v_fma_f16 v65, v67, s1, v65
	v_fma_f16 v28, v27, s0, v56
	v_fma_f16 v22, v67, s0, v21
	v_fma_f16 v23, v27, s1, v23
	v_fma_f16 v68, v45, 2.0, -v65
	v_fma_f16 v28, v70, s0, v28
	v_fma_f16 v22, v48, s0, v22
	v_fma_f16 v36, v14, 2.0, -v23
	v_fma_f16 v33, v56, 2.0, -v28
	;; [unrolled: 1-line block ×3, first 2 shown]
	v_fma_f16 v38, v68, s2, v36
	v_fma_f16 v35, v34, s2, v33
	;; [unrolled: 1-line block ×3, first 2 shown]
	v_fma_f16 v38, v8, 2.0, -v45
	v_fma_f16 v27, v24, 2.0, -v27
	;; [unrolled: 1-line block ×13, first 2 shown]
	v_sub_f16_e32 v8, v3, v8
	v_sub_f16_e32 v18, v13, v18
	v_fma_f16 v0, v0, 2.0, -v31
	v_fma_f16 v1, v1, 2.0, -v2
	;; [unrolled: 1-line block ×8, first 2 shown]
	v_sub_f16_e32 v17, v9, v17
	v_sub_f16_e32 v24, v12, v24
	v_fma_f16 v44, v31, 2.0, -v56
	v_sub_f16_e32 v20, v8, v18
	v_sub_f16_e32 v1, v0, v1
	;; [unrolled: 1-line block ×6, first 2 shown]
	v_fma_f16 v40, v39, s1, v38
	v_fma_f16 v42, v29, 2.0, -v67
	v_fma_f16 v47, v65, s3, v23
	v_add_f16_e32 v25, v1, v19
	v_add_f16_e32 v29, v16, v15
	v_fma_f16 v32, v20, s0, v31
	v_fma_f16 v40, v42, s1, v40
	v_fma_f16 v43, v41, 2.0, -v70
	v_fma_f16 v45, v27, s1, v44
	v_fma_f16 v42, v42, s1, v21
	;; [unrolled: 1-line block ×6, first 2 shown]
	v_fma_f16 v47, v1, 2.0, -v25
	v_fma_f16 v29, v16, 2.0, -v29
	v_fma_f16 v45, v43, s0, v45
	v_fma_f16 v39, v39, s0, v42
	;; [unrolled: 1-line block ×4, first 2 shown]
	v_fma_f16 v20, v8, 2.0, -v20
	v_fma_f16 v48, v29, s1, v47
	v_fma_f16 v49, v17, 2.0, -v31
	v_fma_f16 v35, v68, s3, v35
	v_fma_f16 v27, v27, s1, v43
	;; [unrolled: 1-line block ×4, first 2 shown]
	v_fma_f16 v0, v0, 2.0, -v1
	v_fma_f16 v1, v12, 2.0, -v24
	;; [unrolled: 1-line block ×4, first 2 shown]
	v_fma_f16 v20, v29, s1, v20
	v_fma_f16 v29, v33, 2.0, -v35
	v_fma_f16 v33, v36, 2.0, -v34
	;; [unrolled: 1-line block ×7, first 2 shown]
	v_fma_f16 v36, v21, s4, v24
	v_fma_f16 v14, v14, 2.0, -v27
	v_sub_f16_e32 v1, v0, v1
	v_sub_f16_e32 v8, v3, v8
	;; [unrolled: 1-line block ×3, first 2 shown]
	v_fma_f16 v36, v26, s5, v36
	v_fma_f16 v26, v26, s4, v14
	v_add_f16_e32 v12, v8, v1
	v_fma_f16 v21, v21, s2, v26
	v_fma_f16 v26, v0, 2.0, -v1
	v_fma_f16 v0, v11, 2.0, -v13
	;; [unrolled: 1-line block ×5, first 2 shown]
	v_sub_f16_e32 v11, v26, v0
	v_mad_u64_u32 v[0:1], s[0:1], s20, v10, 0
	v_sub_f16_e32 v2, v9, v2
	v_sub_f16_e32 v15, v2, v13
	v_fma_f16 v19, v2, 2.0, -v15
	v_fma_f16 v9, v9, 2.0, -v2
	;; [unrolled: 1-line block ×3, first 2 shown]
	v_sub_f16_e32 v8, v9, v2
	v_mad_u64_u32 v[1:2], s[0:1], s21, v10, v[1:2]
	v_fma_f16 v43, v40, s5, v27
	v_lshlrev_b64 v[2:3], 2, v[6:7]
	v_fma_f16 v43, v39, s4, v43
	v_fma_f16 v41, v27, 2.0, -v43
	v_mov_b32_e32 v6, s11
	v_add_co_u32_e32 v7, vcc, s10, v2
	v_add_u32_e32 v27, 0x55, v10
	v_addc_co_u32_e32 v6, vcc, v6, v3, vcc
	v_lshlrev_b64 v[2:3], 2, v[4:5]
	v_mad_u64_u32 v[4:5], s[0:1], s20, v27, 0
	v_add_co_u32_e32 v7, vcc, v7, v2
	v_mov_b32_e32 v2, v5
	v_addc_co_u32_e32 v6, vcc, v6, v3, vcc
	v_mad_u64_u32 v[2:3], s[0:1], s21, v27, v[2:3]
	v_lshlrev_b64 v[0:1], 2, v[0:1]
	v_fma_f16 v26, v26, 2.0, -v11
	v_fma_f16 v9, v9, 2.0, -v8
	v_add_co_u32_e32 v0, vcc, v7, v0
	v_addc_co_u32_e32 v1, vcc, v6, v1, vcc
	v_pack_b32_f16 v3, v26, v9
	v_mov_b32_e32 v5, v2
	global_store_dword v[0:1], v3, off
	v_lshlrev_b64 v[0:1], 2, v[4:5]
	v_add_u32_e32 v4, 0xaa, v10
	v_mad_u64_u32 v[2:3], s[0:1], s20, v4, 0
	v_fma_f16 v24, v24, 2.0, -v36
	v_fma_f16 v14, v14, 2.0, -v21
	v_pack_b32_f16 v9, v24, v14
	v_mad_u64_u32 v[3:4], s[0:1], s21, v4, v[3:4]
	v_add_u32_e32 v14, 0xff, v10
	v_mad_u64_u32 v[4:5], s[0:1], s20, v14, 0
	v_add_co_u32_e32 v0, vcc, v7, v0
	v_addc_co_u32_e32 v1, vcc, v6, v1, vcc
	global_store_dword v[0:1], v9, off
	v_lshlrev_b64 v[0:1], 2, v[2:3]
	v_mov_b32_e32 v2, v5
	v_mad_u64_u32 v[2:3], s[0:1], s21, v14, v[2:3]
	v_fma_f16 v16, v47, 2.0, -v48
	v_fma_f16 v17, v49, 2.0, -v20
	v_add_co_u32_e32 v0, vcc, v7, v0
	v_addc_co_u32_e32 v1, vcc, v6, v1, vcc
	v_pack_b32_f16 v3, v16, v17
	v_mov_b32_e32 v5, v2
	global_store_dword v[0:1], v3, off
	v_lshlrev_b64 v[0:1], 2, v[4:5]
	v_add_u32_e32 v4, 0x154, v10
	v_mad_u64_u32 v[2:3], s[0:1], s20, v4, 0
	v_add_u32_e32 v14, 0x1a9, v10
	v_add_co_u32_e32 v0, vcc, v7, v0
	v_mad_u64_u32 v[3:4], s[0:1], s21, v4, v[3:4]
	v_mad_u64_u32 v[4:5], s[0:1], s20, v14, 0
	v_addc_co_u32_e32 v1, vcc, v6, v1, vcc
	v_pack_b32_f16 v9, v29, v33
	global_store_dword v[0:1], v9, off
	v_lshlrev_b64 v[0:1], 2, v[2:3]
	v_mov_b32_e32 v2, v5
	v_mad_u64_u32 v[2:3], s[0:1], s21, v14, v[2:3]
	v_add_co_u32_e32 v0, vcc, v7, v0
	v_addc_co_u32_e32 v1, vcc, v6, v1, vcc
	v_pack_b32_f16 v3, v18, v19
	v_mov_b32_e32 v5, v2
	global_store_dword v[0:1], v3, off
	v_lshlrev_b64 v[0:1], 2, v[4:5]
	v_add_u32_e32 v4, 0x1fe, v10
	v_mad_u64_u32 v[2:3], s[0:1], s20, v4, 0
	v_add_u32_e32 v14, 0x253, v10
	v_fma_f16 v42, v39, s5, v45
	v_mad_u64_u32 v[3:4], s[0:1], s21, v4, v[3:4]
	v_mad_u64_u32 v[4:5], s[0:1], s20, v14, 0
	v_fma_f16 v42, v40, s3, v42
	v_fma_f16 v37, v45, 2.0, -v42
	v_add_co_u32_e32 v0, vcc, v7, v0
	v_addc_co_u32_e32 v1, vcc, v6, v1, vcc
	v_pack_b32_f16 v9, v37, v41
	global_store_dword v[0:1], v9, off
	v_lshlrev_b64 v[0:1], 2, v[2:3]
	v_mov_b32_e32 v2, v5
	v_mad_u64_u32 v[2:3], s[0:1], s21, v14, v[2:3]
	v_fma_f16 v13, v25, 2.0, -v30
	v_fma_f16 v25, v31, 2.0, -v32
	v_add_co_u32_e32 v0, vcc, v7, v0
	v_addc_co_u32_e32 v1, vcc, v6, v1, vcc
	v_pack_b32_f16 v3, v13, v25
	v_mov_b32_e32 v5, v2
	global_store_dword v[0:1], v3, off
	v_lshlrev_b64 v[0:1], 2, v[4:5]
	v_add_u32_e32 v4, 0x2a8, v10
	v_mad_u64_u32 v[2:3], s[0:1], s20, v4, 0
	v_add_u32_e32 v13, 0x2fd, v10
	v_fma_f16 v46, v65, s5, v46
	v_mad_u64_u32 v[3:4], s[0:1], s21, v4, v[3:4]
	v_mad_u64_u32 v[4:5], s[0:1], s20, v13, 0
	v_fma_f16 v28, v28, 2.0, -v46
	v_fma_f16 v23, v23, 2.0, -v22
	v_add_co_u32_e32 v0, vcc, v7, v0
	v_addc_co_u32_e32 v1, vcc, v6, v1, vcc
	v_pack_b32_f16 v9, v28, v23
	global_store_dword v[0:1], v9, off
	v_lshlrev_b64 v[0:1], 2, v[2:3]
	v_mov_b32_e32 v2, v5
	v_mad_u64_u32 v[2:3], s[0:1], s21, v13, v[2:3]
	v_add_co_u32_e32 v0, vcc, v7, v0
	v_addc_co_u32_e32 v1, vcc, v6, v1, vcc
	v_pack_b32_f16 v3, v11, v8
	v_mov_b32_e32 v5, v2
	global_store_dword v[0:1], v3, off
	v_lshlrev_b64 v[0:1], 2, v[4:5]
	v_add_u32_e32 v4, 0x352, v10
	v_mad_u64_u32 v[2:3], s[0:1], s20, v4, 0
	v_add_u32_e32 v9, 0x3a7, v10
	v_add_co_u32_e32 v0, vcc, v7, v0
	v_mad_u64_u32 v[3:4], s[0:1], s21, v4, v[3:4]
	v_mad_u64_u32 v[4:5], s[0:1], s20, v9, 0
	v_addc_co_u32_e32 v1, vcc, v6, v1, vcc
	v_pack_b32_f16 v8, v36, v21
	global_store_dword v[0:1], v8, off
	v_lshlrev_b64 v[0:1], 2, v[2:3]
	v_mov_b32_e32 v2, v5
	v_mad_u64_u32 v[2:3], s[0:1], s21, v9, v[2:3]
	v_add_co_u32_e32 v0, vcc, v7, v0
	v_addc_co_u32_e32 v1, vcc, v6, v1, vcc
	v_pack_b32_f16 v3, v48, v20
	v_mov_b32_e32 v5, v2
	global_store_dword v[0:1], v3, off
	v_lshlrev_b64 v[0:1], 2, v[4:5]
	v_add_u32_e32 v4, 0x3fc, v10
	v_mad_u64_u32 v[2:3], s[0:1], s20, v4, 0
	v_add_u32_e32 v9, 0x451, v10
	v_add_co_u32_e32 v0, vcc, v7, v0
	v_mad_u64_u32 v[3:4], s[0:1], s21, v4, v[3:4]
	v_mad_u64_u32 v[4:5], s[0:1], s20, v9, 0
	;; [unrolled: 18-line block ×3, first 2 shown]
	v_addc_co_u32_e32 v1, vcc, v6, v1, vcc
	v_pack_b32_f16 v8, v42, v43
	global_store_dword v[0:1], v8, off
	v_lshlrev_b64 v[0:1], 2, v[2:3]
	v_mov_b32_e32 v2, v5
	v_mad_u64_u32 v[2:3], s[0:1], s21, v9, v[2:3]
	v_add_co_u32_e32 v0, vcc, v7, v0
	v_addc_co_u32_e32 v1, vcc, v6, v1, vcc
	v_pack_b32_f16 v3, v30, v32
	v_mov_b32_e32 v5, v2
	global_store_dword v[0:1], v3, off
	v_lshlrev_b64 v[0:1], 2, v[4:5]
	v_pack_b32_f16 v2, v46, v22
	v_add_co_u32_e32 v0, vcc, v7, v0
	v_addc_co_u32_e32 v1, vcc, v6, v1, vcc
	global_store_dword v[0:1], v2, off
.LBB0_26:
	s_endpgm
	.section	.rodata,"a",@progbits
	.p2align	6, 0x0
	.amdhsa_kernel fft_rtc_back_len1360_factors_17_5_16_wgs_255_tpt_85_halfLds_half_op_CI_CI_sbrr_dirReg
		.amdhsa_group_segment_fixed_size 0
		.amdhsa_private_segment_fixed_size 0
		.amdhsa_kernarg_size 104
		.amdhsa_user_sgpr_count 6
		.amdhsa_user_sgpr_private_segment_buffer 1
		.amdhsa_user_sgpr_dispatch_ptr 0
		.amdhsa_user_sgpr_queue_ptr 0
		.amdhsa_user_sgpr_kernarg_segment_ptr 1
		.amdhsa_user_sgpr_dispatch_id 0
		.amdhsa_user_sgpr_flat_scratch_init 0
		.amdhsa_user_sgpr_private_segment_size 0
		.amdhsa_uses_dynamic_stack 0
		.amdhsa_system_sgpr_private_segment_wavefront_offset 0
		.amdhsa_system_sgpr_workgroup_id_x 1
		.amdhsa_system_sgpr_workgroup_id_y 0
		.amdhsa_system_sgpr_workgroup_id_z 0
		.amdhsa_system_sgpr_workgroup_info 0
		.amdhsa_system_vgpr_workitem_id 0
		.amdhsa_next_free_vgpr 103
		.amdhsa_next_free_sgpr 32
		.amdhsa_reserve_vcc 1
		.amdhsa_reserve_flat_scratch 0
		.amdhsa_float_round_mode_32 0
		.amdhsa_float_round_mode_16_64 0
		.amdhsa_float_denorm_mode_32 3
		.amdhsa_float_denorm_mode_16_64 3
		.amdhsa_dx10_clamp 1
		.amdhsa_ieee_mode 1
		.amdhsa_fp16_overflow 0
		.amdhsa_exception_fp_ieee_invalid_op 0
		.amdhsa_exception_fp_denorm_src 0
		.amdhsa_exception_fp_ieee_div_zero 0
		.amdhsa_exception_fp_ieee_overflow 0
		.amdhsa_exception_fp_ieee_underflow 0
		.amdhsa_exception_fp_ieee_inexact 0
		.amdhsa_exception_int_div_zero 0
	.end_amdhsa_kernel
	.text
.Lfunc_end0:
	.size	fft_rtc_back_len1360_factors_17_5_16_wgs_255_tpt_85_halfLds_half_op_CI_CI_sbrr_dirReg, .Lfunc_end0-fft_rtc_back_len1360_factors_17_5_16_wgs_255_tpt_85_halfLds_half_op_CI_CI_sbrr_dirReg
                                        ; -- End function
	.section	.AMDGPU.csdata,"",@progbits
; Kernel info:
; codeLenInByte = 13612
; NumSgprs: 36
; NumVgprs: 103
; ScratchSize: 0
; MemoryBound: 0
; FloatMode: 240
; IeeeMode: 1
; LDSByteSize: 0 bytes/workgroup (compile time only)
; SGPRBlocks: 4
; VGPRBlocks: 25
; NumSGPRsForWavesPerEU: 36
; NumVGPRsForWavesPerEU: 103
; Occupancy: 2
; WaveLimiterHint : 1
; COMPUTE_PGM_RSRC2:SCRATCH_EN: 0
; COMPUTE_PGM_RSRC2:USER_SGPR: 6
; COMPUTE_PGM_RSRC2:TRAP_HANDLER: 0
; COMPUTE_PGM_RSRC2:TGID_X_EN: 1
; COMPUTE_PGM_RSRC2:TGID_Y_EN: 0
; COMPUTE_PGM_RSRC2:TGID_Z_EN: 0
; COMPUTE_PGM_RSRC2:TIDIG_COMP_CNT: 0
	.type	__hip_cuid_ad7eed5c7765600d,@object ; @__hip_cuid_ad7eed5c7765600d
	.section	.bss,"aw",@nobits
	.globl	__hip_cuid_ad7eed5c7765600d
__hip_cuid_ad7eed5c7765600d:
	.byte	0                               ; 0x0
	.size	__hip_cuid_ad7eed5c7765600d, 1

	.ident	"AMD clang version 19.0.0git (https://github.com/RadeonOpenCompute/llvm-project roc-6.4.0 25133 c7fe45cf4b819c5991fe208aaa96edf142730f1d)"
	.section	".note.GNU-stack","",@progbits
	.addrsig
	.addrsig_sym __hip_cuid_ad7eed5c7765600d
	.amdgpu_metadata
---
amdhsa.kernels:
  - .args:
      - .actual_access:  read_only
        .address_space:  global
        .offset:         0
        .size:           8
        .value_kind:     global_buffer
      - .offset:         8
        .size:           8
        .value_kind:     by_value
      - .actual_access:  read_only
        .address_space:  global
        .offset:         16
        .size:           8
        .value_kind:     global_buffer
      - .actual_access:  read_only
        .address_space:  global
        .offset:         24
        .size:           8
        .value_kind:     global_buffer
      - .actual_access:  read_only
        .address_space:  global
        .offset:         32
        .size:           8
        .value_kind:     global_buffer
      - .offset:         40
        .size:           8
        .value_kind:     by_value
      - .actual_access:  read_only
        .address_space:  global
        .offset:         48
        .size:           8
        .value_kind:     global_buffer
      - .actual_access:  read_only
        .address_space:  global
        .offset:         56
        .size:           8
        .value_kind:     global_buffer
      - .offset:         64
        .size:           4
        .value_kind:     by_value
      - .actual_access:  read_only
        .address_space:  global
        .offset:         72
        .size:           8
        .value_kind:     global_buffer
      - .actual_access:  read_only
        .address_space:  global
        .offset:         80
        .size:           8
        .value_kind:     global_buffer
      - .actual_access:  read_only
        .address_space:  global
        .offset:         88
        .size:           8
        .value_kind:     global_buffer
      - .actual_access:  write_only
        .address_space:  global
        .offset:         96
        .size:           8
        .value_kind:     global_buffer
    .group_segment_fixed_size: 0
    .kernarg_segment_align: 8
    .kernarg_segment_size: 104
    .language:       OpenCL C
    .language_version:
      - 2
      - 0
    .max_flat_workgroup_size: 255
    .name:           fft_rtc_back_len1360_factors_17_5_16_wgs_255_tpt_85_halfLds_half_op_CI_CI_sbrr_dirReg
    .private_segment_fixed_size: 0
    .sgpr_count:     36
    .sgpr_spill_count: 0
    .symbol:         fft_rtc_back_len1360_factors_17_5_16_wgs_255_tpt_85_halfLds_half_op_CI_CI_sbrr_dirReg.kd
    .uniform_work_group_size: 1
    .uses_dynamic_stack: false
    .vgpr_count:     103
    .vgpr_spill_count: 0
    .wavefront_size: 64
amdhsa.target:   amdgcn-amd-amdhsa--gfx906
amdhsa.version:
  - 1
  - 2
...

	.end_amdgpu_metadata
